;; amdgpu-corpus repo=ROCm/rocFFT kind=compiled arch=gfx1100 opt=O3
	.text
	.amdgcn_target "amdgcn-amd-amdhsa--gfx1100"
	.amdhsa_code_object_version 6
	.protected	bluestein_single_fwd_len1859_dim1_sp_op_CI_CI ; -- Begin function bluestein_single_fwd_len1859_dim1_sp_op_CI_CI
	.globl	bluestein_single_fwd_len1859_dim1_sp_op_CI_CI
	.p2align	8
	.type	bluestein_single_fwd_len1859_dim1_sp_op_CI_CI,@function
bluestein_single_fwd_len1859_dim1_sp_op_CI_CI: ; @bluestein_single_fwd_len1859_dim1_sp_op_CI_CI
; %bb.0:
	s_load_b128 s[4:7], s[0:1], 0x28
	v_mul_u32_u24_e32 v1, 0x184, v0
	s_mov_b32 s2, exec_lo
	v_mov_b32_e32 v73, 0
	s_delay_alu instid0(VALU_DEP_2) | instskip(NEXT) | instid1(VALU_DEP_1)
	v_lshrrev_b32_e32 v1, 16, v1
	v_add_nc_u32_e32 v72, s15, v1
	s_waitcnt lgkmcnt(0)
	s_delay_alu instid0(VALU_DEP_1)
	v_cmpx_gt_u64_e64 s[4:5], v[72:73]
	s_cbranch_execz .LBB0_23
; %bb.1:
	s_clause 0x1
	s_load_b64 s[14:15], s[0:1], 0x0
	s_load_b64 s[12:13], s[0:1], 0x38
	v_mul_lo_u16 v1, 0xa9, v1
	s_delay_alu instid0(VALU_DEP_1) | instskip(NEXT) | instid1(VALU_DEP_1)
	v_sub_nc_u16 v0, v0, v1
	v_and_b32_e32 v76, 0xffff, v0
	v_cmp_gt_u16_e32 vcc_lo, 0x8f, v0
	s_delay_alu instid0(VALU_DEP_2)
	v_lshlrev_b32_e32 v75, 3, v76
	s_and_saveexec_b32 s3, vcc_lo
	s_cbranch_execz .LBB0_3
; %bb.2:
	s_load_b64 s[4:5], s[0:1], 0x18
	s_waitcnt lgkmcnt(0)
	v_add_co_u32 v18, s2, s14, v75
	s_delay_alu instid0(VALU_DEP_1)
	v_add_co_ci_u32_e64 v19, null, s15, 0, s2
	v_add_nc_u32_e32 v54, 0x1000, v75
	s_load_b128 s[8:11], s[4:5], 0x0
	s_waitcnt lgkmcnt(0)
	v_mad_u64_u32 v[0:1], null, s10, v72, 0
	v_mad_u64_u32 v[2:3], null, s8, v76, 0
	s_mul_i32 s4, s9, 0x478
	s_mul_hi_u32 s5, s8, 0x478
	s_delay_alu instid0(SALU_CYCLE_1) | instskip(NEXT) | instid1(VALU_DEP_1)
	s_add_i32 s5, s5, s4
	v_mad_u64_u32 v[4:5], null, s11, v72, v[1:2]
	s_clause 0x3
	global_load_b64 v[5:6], v75, s[14:15]
	global_load_b64 v[7:8], v75, s[14:15] offset:1144
	global_load_b64 v[9:10], v75, s[14:15] offset:2288
	;; [unrolled: 1-line block ×3, first 2 shown]
	v_mad_u64_u32 v[13:14], null, s9, v76, v[3:4]
	v_mov_b32_e32 v1, v4
	v_add_co_u32 v14, s2, 0x1000, v18
	s_delay_alu instid0(VALU_DEP_1)
	v_add_co_ci_u32_e64 v15, s2, 0, v19, s2
	v_add_co_u32 v16, s2, 0x2000, v18
	v_mov_b32_e32 v3, v13
	v_lshlrev_b64 v[0:1], 3, v[0:1]
	v_add_co_ci_u32_e64 v17, s2, 0, v19, s2
	v_add_co_u32 v18, s2, 0x3000, v18
	s_delay_alu instid0(VALU_DEP_1) | instskip(SKIP_2) | instid1(VALU_DEP_1)
	v_add_co_ci_u32_e64 v19, s2, 0, v19, s2
	v_lshlrev_b64 v[2:3], 3, v[2:3]
	v_add_co_u32 v0, s2, s6, v0
	v_add_co_ci_u32_e64 v1, s2, s7, v1, s2
	s_mul_i32 s6, s8, 0x478
	s_delay_alu instid0(VALU_DEP_2) | instskip(NEXT) | instid1(VALU_DEP_1)
	v_add_co_u32 v0, s2, v0, v2
	v_add_co_ci_u32_e64 v1, s2, v1, v3, s2
	s_clause 0x3
	global_load_b64 v[20:21], v[14:15], off offset:480
	global_load_b64 v[22:23], v[14:15], off offset:1624
	;; [unrolled: 1-line block ×4, first 2 shown]
	v_add_co_u32 v2, s2, v0, s6
	s_delay_alu instid0(VALU_DEP_1)
	v_add_co_ci_u32_e64 v3, s2, s5, v1, s2
	s_clause 0x2
	global_load_b64 v[28:29], v[16:17], off offset:960
	global_load_b64 v[30:31], v[16:17], off offset:2104
	;; [unrolled: 1-line block ×3, first 2 shown]
	v_add_co_u32 v26, s2, v2, s6
	s_delay_alu instid0(VALU_DEP_1) | instskip(SKIP_2) | instid1(VALU_DEP_1)
	v_add_co_ci_u32_e64 v27, s2, s5, v3, s2
	global_load_b64 v[0:1], v[0:1], off
	v_add_co_u32 v32, s2, v26, s6
	v_add_co_ci_u32_e64 v33, s2, s5, v27, s2
	s_delay_alu instid0(VALU_DEP_2) | instskip(NEXT) | instid1(VALU_DEP_1)
	v_add_co_u32 v34, s2, v32, s6
	v_add_co_ci_u32_e64 v35, s2, s5, v33, s2
	s_clause 0x2
	global_load_b64 v[2:3], v[2:3], off
	global_load_b64 v[26:27], v[26:27], off
	;; [unrolled: 1-line block ×3, first 2 shown]
	v_add_co_u32 v36, s2, v34, s6
	s_delay_alu instid0(VALU_DEP_1) | instskip(SKIP_2) | instid1(VALU_DEP_1)
	v_add_co_ci_u32_e64 v37, s2, s5, v35, s2
	global_load_b64 v[34:35], v[34:35], off
	v_add_co_u32 v38, s2, v36, s6
	v_add_co_ci_u32_e64 v39, s2, s5, v37, s2
	global_load_b64 v[36:37], v[36:37], off
	v_add_co_u32 v40, s2, v38, s6
	s_delay_alu instid0(VALU_DEP_1) | instskip(SKIP_2) | instid1(VALU_DEP_1)
	v_add_co_ci_u32_e64 v41, s2, s5, v39, s2
	global_load_b64 v[38:39], v[38:39], off
	v_add_co_u32 v42, s2, v40, s6
	v_add_co_ci_u32_e64 v43, s2, s5, v41, s2
	global_load_b64 v[40:41], v[40:41], off
	;; [unrolled: 7-line block ×4, first 2 shown]
	s_clause 0x1
	global_load_b64 v[52:53], v[18:19], off offset:296
	global_load_b64 v[17:18], v[18:19], off offset:1440
	global_load_b64 v[50:51], v[50:51], off
	v_add_nc_u32_e32 v19, 0x800, v75
	v_add_nc_u32_e32 v55, 0x1800, v75
	;; [unrolled: 1-line block ×3, first 2 shown]
	s_waitcnt vmcnt(14)
	v_mul_f32_e32 v4, v1, v6
	v_dual_mul_f32 v56, v0, v6 :: v_dual_add_nc_u32 v57, 0x2200, v75
	s_delay_alu instid0(VALU_DEP_2) | instskip(NEXT) | instid1(VALU_DEP_2)
	v_fmac_f32_e32 v4, v0, v5
	v_fma_f32 v5, v1, v5, -v56
	s_waitcnt vmcnt(13)
	v_mul_f32_e32 v6, v3, v8
	s_waitcnt vmcnt(12)
	v_dual_mul_f32 v1, v2, v8 :: v_dual_mul_f32 v0, v27, v10
	v_mul_f32_e32 v8, v26, v10
	s_waitcnt vmcnt(11)
	v_mul_f32_e32 v10, v32, v12
	v_fmac_f32_e32 v6, v2, v7
	v_mul_f32_e32 v2, v33, v12
	v_fma_f32 v7, v3, v7, -v1
	v_fmac_f32_e32 v0, v26, v9
	v_fma_f32 v1, v27, v9, -v8
	v_fma_f32 v3, v33, v11, -v10
	v_fmac_f32_e32 v2, v32, v11
	ds_store_2addr_b64 v75, v[4:5], v[6:7] offset1:143
	s_waitcnt vmcnt(10)
	v_mul_f32_e32 v8, v35, v21
	s_waitcnt vmcnt(9)
	v_dual_mul_f32 v9, v34, v21 :: v_dual_mul_f32 v4, v37, v23
	s_delay_alu instid0(VALU_DEP_2) | instskip(NEXT) | instid1(VALU_DEP_2)
	v_fmac_f32_e32 v8, v34, v20
	v_fma_f32 v9, v35, v20, -v9
	s_waitcnt vmcnt(6)
	v_dual_mul_f32 v7, v40, v14 :: v_dual_mul_f32 v6, v43, v29
	s_waitcnt vmcnt(5)
	v_mul_f32_e32 v11, v44, v31
	ds_store_2addr_b64 v19, v[0:1], v[2:3] offset0:30 offset1:173
	v_mul_f32_e32 v1, v36, v23
	v_dual_mul_f32 v3, v38, v25 :: v_dual_mul_f32 v2, v41, v14
	v_mul_f32_e32 v0, v39, v25
	v_mul_f32_e32 v10, v45, v31
	s_delay_alu instid0(VALU_DEP_4)
	v_fma_f32 v5, v37, v22, -v1
	s_waitcnt vmcnt(2)
	v_mul_f32_e32 v19, v48, v53
	v_fma_f32 v1, v39, v24, -v3
	v_fma_f32 v3, v41, v13, -v7
	v_mul_f32_e32 v7, v42, v29
	v_fmac_f32_e32 v2, v40, v13
	v_mul_f32_e32 v12, v47, v16
	v_dual_mul_f32 v13, v46, v16 :: v_dual_mul_f32 v14, v49, v53
	s_waitcnt vmcnt(0)
	v_mul_f32_e32 v16, v51, v18
	v_mul_f32_e32 v18, v50, v18
	v_fmac_f32_e32 v4, v36, v22
	v_fmac_f32_e32 v0, v38, v24
	;; [unrolled: 1-line block ×3, first 2 shown]
	v_fma_f32 v7, v43, v28, -v7
	v_fmac_f32_e32 v10, v44, v30
	v_fma_f32 v11, v45, v30, -v11
	v_fmac_f32_e32 v12, v46, v15
	;; [unrolled: 2-line block ×4, first 2 shown]
	v_fma_f32 v17, v51, v17, -v18
	ds_store_2addr_b64 v54, v[8:9], v[4:5] offset0:60 offset1:203
	ds_store_2addr_b64 v55, v[0:1], v[2:3] offset0:90 offset1:233
	;; [unrolled: 1-line block ×4, first 2 shown]
	ds_store_b64 v75, v[16:17] offset:13728
.LBB0_3:
	s_or_b32 exec_lo, exec_lo, s3
	s_clause 0x1
	s_load_b64 s[2:3], s[0:1], 0x20
	s_load_b64 s[0:1], s[0:1], 0x8
	v_mov_b32_e32 v0, 0
	v_mov_b32_e32 v1, 0
	s_waitcnt lgkmcnt(0)
	s_barrier
	buffer_gl0_inv
                                        ; implicit-def: $vgpr14
                                        ; implicit-def: $vgpr8
                                        ; implicit-def: $vgpr4
                                        ; implicit-def: $vgpr24
                                        ; implicit-def: $vgpr18
                                        ; implicit-def: $vgpr22
	s_and_saveexec_b32 s4, vcc_lo
	s_cbranch_execz .LBB0_5
; %bb.4:
	v_add_nc_u32_e32 v4, 0x800, v75
	v_add_nc_u32_e32 v5, 0x1000, v75
	;; [unrolled: 1-line block ×5, first 2 shown]
	ds_load_2addr_b64 v[0:3], v75 offset1:143
	ds_load_2addr_b64 v[20:23], v4 offset0:30 offset1:173
	ds_load_2addr_b64 v[16:19], v5 offset0:60 offset1:203
	;; [unrolled: 1-line block ×5, first 2 shown]
	ds_load_b64 v[24:25], v75 offset:13728
.LBB0_5:
	s_or_b32 exec_lo, exec_lo, s4
	s_waitcnt lgkmcnt(0)
	v_dual_sub_f32 v58, v3, v25 :: v_dual_sub_f32 v65, v2, v24
	v_add_f32_e32 v28, v24, v2
	v_dual_add_f32 v30, v25, v3 :: v_dual_add_f32 v29, v6, v20
	s_delay_alu instid0(VALU_DEP_3) | instskip(SKIP_2) | instid1(VALU_DEP_3)
	v_dual_sub_f32 v64, v20, v6 :: v_dual_mul_f32 v53, 0xbf52af12, v65
	v_dual_mul_f32 v41, 0xbeedf032, v65 :: v_dual_sub_f32 v62, v21, v7
	v_dual_add_f32 v31, v7, v21 :: v_dual_mul_f32 v50, 0xbf52af12, v58
	v_fma_f32 v33, 0x3f116cb1, v30, -v53
	s_delay_alu instid0(VALU_DEP_3) | instskip(SKIP_2) | instid1(VALU_DEP_4)
	v_fma_f32 v27, 0x3f62ad3f, v30, -v41
	v_mul_f32_e32 v40, 0xbeedf032, v58
	v_dual_mul_f32 v42, 0xbf52af12, v62 :: v_dual_sub_f32 v67, v23, v5
	v_dual_add_f32 v36, v33, v1 :: v_dual_mul_f32 v59, 0xbf6f5d39, v64
	s_delay_alu instid0(VALU_DEP_3) | instskip(SKIP_3) | instid1(VALU_DEP_3)
	v_dual_add_f32 v27, v27, v1 :: v_dual_fmamk_f32 v26, v28, 0x3f62ad3f, v40
	v_dual_mul_f32 v55, 0xbf6f5d39, v62 :: v_dual_sub_f32 v74, v22, v4
	v_add_f32_e32 v33, v5, v23
	v_dual_fmamk_f32 v34, v29, 0x3f116cb1, v42 :: v_dual_sub_f32 v79, v16, v10
	v_dual_add_f32 v26, v26, v0 :: v_dual_fmamk_f32 v37, v29, 0xbeb58ec6, v55
	v_mul_f32_e32 v44, 0xbf52af12, v64
	v_mul_f32_e32 v43, 0xbf7e222b, v67
	v_fma_f32 v38, 0xbeb58ec6, v31, -v59
	s_delay_alu instid0(VALU_DEP_4)
	v_add_f32_e32 v26, v34, v26
	v_mul_f32_e32 v48, 0xbf7e222b, v74
	v_fma_f32 v34, 0x3f116cb1, v31, -v44
	v_fmamk_f32 v32, v28, 0x3f116cb1, v50
	v_dual_sub_f32 v78, v17, v11 :: v_dual_mul_f32 v61, 0xbe750f2a, v74
	v_mul_f32_e32 v57, 0xbe750f2a, v67
	s_delay_alu instid0(VALU_DEP_4) | instskip(NEXT) | instid1(VALU_DEP_4)
	v_add_f32_e32 v27, v34, v27
	v_add_f32_e32 v35, v32, v0
	v_add_f32_e32 v32, v4, v22
	v_add_f32_e32 v36, v38, v36
	v_dual_add_f32 v34, v10, v16 :: v_dual_mul_f32 v45, 0xbf6f5d39, v78
	s_delay_alu instid0(VALU_DEP_4) | instskip(NEXT) | instid1(VALU_DEP_4)
	v_add_f32_e32 v37, v37, v35
	v_fmamk_f32 v39, v32, 0x3df6dbef, v43
	v_add_f32_e32 v35, v11, v17
	v_fma_f32 v38, 0x3df6dbef, v33, -v48
	v_mul_f32_e32 v49, 0xbf6f5d39, v79
	v_fma_f32 v46, 0xbf788fa5, v33, -v61
	v_dual_add_f32 v26, v39, v26 :: v_dual_fmamk_f32 v39, v32, 0xbf788fa5, v57
	v_fmamk_f32 v47, v34, 0xbeb58ec6, v45
	v_mul_f32_e32 v60, 0x3f29c268, v78
	s_delay_alu instid0(VALU_DEP_4) | instskip(SKIP_1) | instid1(VALU_DEP_4)
	v_add_f32_e32 v46, v46, v36
	v_dual_add_f32 v36, v8, v18 :: v_dual_add_f32 v27, v38, v27
	v_add_f32_e32 v26, v47, v26
	v_fma_f32 v38, 0xbeb58ec6, v35, -v49
	v_add_f32_e32 v39, v39, v37
	v_dual_sub_f32 v81, v19, v9 :: v_dual_mul_f32 v66, 0x3f29c268, v79
	v_dual_sub_f32 v82, v18, v8 :: v_dual_add_f32 v37, v9, v19
	s_delay_alu instid0(VALU_DEP_2) | instskip(NEXT) | instid1(VALU_DEP_2)
	v_dual_sub_f32 v80, v13, v15 :: v_dual_mul_f32 v51, 0xbf29c268, v81
	v_dual_add_f32 v27, v38, v27 :: v_dual_mul_f32 v52, 0xbf29c268, v82
	v_fmamk_f32 v38, v34, 0xbf3f9e67, v60
	v_mul_f32_e32 v63, 0x3f7e222b, v81
	v_fma_f32 v47, 0xbf3f9e67, v35, -v66
	v_mul_f32_e32 v73, 0x3f7e222b, v82
	s_delay_alu instid0(VALU_DEP_4)
	v_dual_sub_f32 v83, v12, v14 :: v_dual_add_f32 v38, v38, v39
	v_fma_f32 v39, 0xbf3f9e67, v37, -v52
	v_fmamk_f32 v56, v36, 0x3df6dbef, v63
	v_fmamk_f32 v54, v36, 0xbf3f9e67, v51
	v_add_f32_e32 v46, v47, v46
	v_fma_f32 v68, 0x3df6dbef, v37, -v73
	v_add_f32_e32 v27, v39, v27
	v_add_f32_e32 v39, v15, v13
	v_dual_add_f32 v47, v56, v38 :: v_dual_add_f32 v38, v14, v12
	v_mul_f32_e32 v56, 0xbe750f2a, v83
	s_barrier
	buffer_gl0_inv
	v_fma_f32 v69, 0xbf788fa5, v39, -v56
	v_add_f32_e32 v26, v54, v26
	v_mul_f32_e32 v54, 0xbe750f2a, v80
	v_mul_f32_e32 v71, 0x3eedf032, v83
	v_add_f32_e32 v77, v68, v46
	s_delay_alu instid0(VALU_DEP_3) | instskip(NEXT) | instid1(VALU_DEP_3)
	v_dual_add_f32 v69, v69, v27 :: v_dual_fmamk_f32 v46, v38, 0xbf788fa5, v54
	v_fma_f32 v85, 0x3f62ad3f, v39, -v71
	v_mul_f32_e32 v70, 0x3eedf032, v80
	s_delay_alu instid0(VALU_DEP_3) | instskip(NEXT) | instid1(VALU_DEP_2)
	v_add_f32_e32 v68, v46, v26
	v_fmamk_f32 v84, v38, 0x3f62ad3f, v70
	s_delay_alu instid0(VALU_DEP_1)
	v_dual_add_f32 v46, v84, v47 :: v_dual_add_f32 v47, v85, v77
	v_mul_lo_u16 v77, v76, 13
	s_and_saveexec_b32 s4, vcc_lo
	s_cbranch_execz .LBB0_7
; %bb.6:
	v_mul_f32_e32 v92, 0xbf29c268, v67
	v_dual_mul_f32 v85, 0x3eedf032, v64 :: v_dual_mul_f32 v90, 0x3eedf032, v62
	v_mul_f32_e32 v98, 0xbf29c268, v65
	v_mul_f32_e32 v89, 0xbf6f5d39, v82
	s_delay_alu instid0(VALU_DEP_4)
	v_fma_f32 v96, 0xbf3f9e67, v32, -v92
	v_mul_f32_e32 v88, 0xbe750f2a, v58
	v_fma_f32 v94, 0x3f62ad3f, v29, -v90
	v_fmamk_f32 v99, v30, 0xbf3f9e67, v98
	v_mul_f32_e32 v95, 0x3f52af12, v78
	v_dual_mul_f32 v100, 0x3f7e222b, v64 :: v_dual_mul_f32 v103, 0x3f7e222b, v62
	v_fma_f32 v91, 0xbf788fa5, v28, -v88
	v_mul_f32_e32 v84, 0xbe750f2a, v65
	s_delay_alu instid0(VALU_DEP_4) | instskip(SKIP_1) | instid1(VALU_DEP_4)
	v_fma_f32 v97, 0x3f116cb1, v34, -v95
	v_dual_mul_f32 v104, 0x3e750f2a, v79 :: v_dual_add_f32 v3, v3, v1
	v_dual_add_f32 v91, v91, v0 :: v_dual_mul_f32 v86, 0xbf29c268, v74
	v_fma_f32 v105, 0x3df6dbef, v29, -v103
	v_mul_f32_e32 v108, 0x3e750f2a, v78
	v_mul_f32_e32 v115, 0xbf6f5d39, v58
	s_delay_alu instid0(VALU_DEP_4) | instskip(SKIP_2) | instid1(VALU_DEP_3)
	v_dual_add_f32 v91, v94, v91 :: v_dual_mul_f32 v94, 0xbf6f5d39, v81
	v_dual_mul_f32 v114, 0x3eedf032, v74 :: v_dual_mul_f32 v119, 0x3eedf032, v67
	v_mul_f32_e32 v118, 0xbf7e222b, v79
	v_dual_add_f32 v91, v96, v91 :: v_dual_fmamk_f32 v26, v30, 0xbf788fa5, v84
	v_dual_mul_f32 v120, 0x3e750f2a, v82 :: v_dual_mul_f32 v121, 0x3e750f2a, v81
	v_mul_f32_e32 v101, 0x3f7e222b, v80
	s_delay_alu instid0(VALU_DEP_3) | instskip(NEXT) | instid1(VALU_DEP_4)
	v_add_f32_e32 v91, v97, v91
	v_dual_mul_f32 v87, 0x3f52af12, v79 :: v_dual_add_f32 v26, v26, v1
	v_fmamk_f32 v93, v33, 0xbf3f9e67, v86
	v_fmamk_f32 v27, v31, 0x3f62ad3f, v85
	v_fma_f32 v97, 0xbeb58ec6, v36, -v94
	v_mul_f32_e32 v106, 0xbf52af12, v67
	v_fma_f32 v109, 0x3df6dbef, v38, -v101
	s_delay_alu instid0(VALU_DEP_4) | instskip(NEXT) | instid1(VALU_DEP_4)
	v_dual_mul_f32 v67, 0x3f6f5d39, v67 :: v_dual_add_f32 v26, v27, v26
	v_add_f32_e32 v91, v97, v91
	v_fmamk_f32 v97, v31, 0x3df6dbef, v100
	v_fmamk_f32 v27, v35, 0x3f116cb1, v87
	v_mul_f32_e32 v107, 0x3eedf032, v82
	v_dual_add_f32 v26, v93, v26 :: v_dual_mul_f32 v93, 0x3f7e222b, v83
	v_mul_f32_e32 v82, 0xbf52af12, v82
	v_dual_fmac_f32 v101, 0x3df6dbef, v38 :: v_dual_add_f32 v2, v2, v0
	s_delay_alu instid0(VALU_DEP_3) | instskip(NEXT) | instid1(VALU_DEP_4)
	v_dual_add_f32 v26, v27, v26 :: v_dual_fmamk_f32 v27, v37, 0xbeb58ec6, v89
	v_dual_fmamk_f32 v96, v39, 0x3df6dbef, v93 :: v_dual_add_f32 v3, v21, v3
	s_delay_alu instid0(VALU_DEP_3) | instskip(NEXT) | instid1(VALU_DEP_3)
	v_dual_add_f32 v2, v20, v2 :: v_dual_mul_f32 v79, 0x3eedf032, v79
	v_add_f32_e32 v26, v27, v26
	v_fmac_f32_e32 v88, 0xbf788fa5, v28
	v_fmac_f32_e32 v94, 0xbeb58ec6, v36
	s_delay_alu instid0(VALU_DEP_4) | instskip(SKIP_4) | instid1(VALU_DEP_4)
	v_add_f32_e32 v116, v22, v2
	v_fma_f32 v2, 0xbeb58ec6, v28, -v115
	v_dual_add_f32 v27, v96, v26 :: v_dual_add_f32 v26, v99, v1
	v_mul_f32_e32 v99, 0xbf52af12, v74
	v_mul_f32_e32 v74, 0x3f6f5d39, v74
	v_add_f32_e32 v2, v2, v0
	v_add_f32_e32 v16, v16, v116
	;; [unrolled: 1-line block ×3, first 2 shown]
	v_fmamk_f32 v97, v33, 0x3f116cb1, v99
	v_fmac_f32_e32 v92, 0xbf3f9e67, v32
	s_delay_alu instid0(VALU_DEP_4) | instskip(NEXT) | instid1(VALU_DEP_3)
	v_dual_fmac_f32 v95, 0x3f116cb1, v34 :: v_dual_add_f32 v16, v18, v16
	v_dual_fmac_f32 v115, 0xbeb58ec6, v28 :: v_dual_add_f32 v26, v97, v26
	v_fmamk_f32 v97, v35, 0xbf788fa5, v104
	s_delay_alu instid0(VALU_DEP_1) | instskip(SKIP_2) | instid1(VALU_DEP_1)
	v_dual_fmac_f32 v90, 0x3f62ad3f, v29 :: v_dual_add_f32 v97, v97, v26
	v_add_f32_e32 v26, v109, v91
	v_fmamk_f32 v110, v37, 0x3f62ad3f, v107
	v_dual_mul_f32 v96, 0xbf29c268, v58 :: v_dual_add_f32 v91, v110, v97
	s_delay_alu instid0(VALU_DEP_1) | instskip(SKIP_3) | instid1(VALU_DEP_4)
	v_fma_f32 v102, 0xbf3f9e67, v28, -v96
	v_mul_f32_e32 v110, 0x3eedf032, v81
	v_mul_f32_e32 v97, 0xbf6f5d39, v83
	;; [unrolled: 1-line block ×3, first 2 shown]
	v_dual_fmamk_f32 v125, v37, 0x3f116cb1, v82 :: v_dual_add_f32 v102, v102, v0
	s_delay_alu instid0(VALU_DEP_4) | instskip(SKIP_1) | instid1(VALU_DEP_4)
	v_fma_f32 v113, 0x3f62ad3f, v36, -v110
	v_fmac_f32_e32 v110, 0x3f62ad3f, v36
	v_fma_f32 v126, 0x3f116cb1, v36, -v81
	s_delay_alu instid0(VALU_DEP_4) | instskip(SKIP_3) | instid1(VALU_DEP_3)
	v_dual_fmac_f32 v81, 0x3f116cb1, v36 :: v_dual_add_f32 v102, v105, v102
	v_fma_f32 v105, 0x3f116cb1, v32, -v106
	v_fmac_f32_e32 v106, 0x3f116cb1, v32
	v_fmac_f32_e32 v96, 0xbf3f9e67, v28
	v_add_f32_e32 v102, v105, v102
	v_fma_f32 v105, 0xbf788fa5, v34, -v108
	v_mul_f32_e32 v111, 0xbf6f5d39, v65
	s_delay_alu instid0(VALU_DEP_2) | instskip(NEXT) | instid1(VALU_DEP_2)
	v_dual_mul_f32 v65, 0xbf7e222b, v65 :: v_dual_add_f32 v102, v105, v102
	v_fmamk_f32 v105, v30, 0xbeb58ec6, v111
	s_delay_alu instid0(VALU_DEP_1) | instskip(SKIP_1) | instid1(VALU_DEP_1)
	v_add_f32_e32 v105, v105, v1
	v_mul_f32_e32 v109, 0x3f29c268, v64
	v_fmamk_f32 v112, v31, 0xbf3f9e67, v109
	s_delay_alu instid0(VALU_DEP_1) | instskip(SKIP_3) | instid1(VALU_DEP_4)
	v_dual_add_f32 v20, v112, v105 :: v_dual_mul_f32 v105, 0xbf6f5d39, v80
	v_dual_add_f32 v112, v23, v3 :: v_dual_fmamk_f32 v3, v33, 0x3f62ad3f, v114
	v_add_f32_e32 v23, v113, v102
	v_mul_f32_e32 v102, 0xbf7e222b, v78
	v_fma_f32 v113, 0xbeb58ec6, v38, -v105
	s_delay_alu instid0(VALU_DEP_4) | instskip(SKIP_3) | instid1(VALU_DEP_3)
	v_dual_mul_f32 v78, 0x3eedf032, v78 :: v_dual_add_f32 v3, v3, v20
	v_fmamk_f32 v20, v35, 0x3df6dbef, v118
	v_mul_f32_e32 v117, 0x3f29c268, v62
	v_dual_mul_f32 v62, 0xbe750f2a, v62 :: v_dual_add_f32 v17, v17, v112
	v_add_f32_e32 v20, v20, v3
	s_delay_alu instid0(VALU_DEP_3) | instskip(SKIP_2) | instid1(VALU_DEP_3)
	v_fma_f32 v22, 0xbf3f9e67, v29, -v117
	v_mul_f32_e32 v123, 0x3f52af12, v83
	v_mul_f32_e32 v83, 0xbf29c268, v83
	v_dual_add_f32 v17, v19, v17 :: v_dual_add_f32 v2, v22, v2
	v_fma_f32 v22, 0x3f62ad3f, v32, -v119
	v_fmamk_f32 v21, v39, 0xbeb58ec6, v97
	s_delay_alu instid0(VALU_DEP_2) | instskip(SKIP_1) | instid1(VALU_DEP_3)
	v_dual_add_f32 v13, v13, v17 :: v_dual_add_f32 v2, v22, v2
	v_fma_f32 v22, 0x3df6dbef, v34, -v102
	v_add_f32_e32 v3, v21, v91
	v_fmamk_f32 v91, v39, 0x3f116cb1, v123
	s_delay_alu instid0(VALU_DEP_4)
	v_add_f32_e32 v13, v15, v13
	v_add_f32_e32 v15, v12, v16
	v_add_f32_e32 v21, v22, v2
	v_fma_f32 v22, 0xbf788fa5, v36, -v121
	v_add_f32_e32 v2, v113, v23
	v_fmamk_f32 v122, v37, 0xbf788fa5, v120
	v_mul_f32_e32 v113, 0xbf7e222b, v58
	v_add_f32_e32 v9, v9, v13
	v_add_f32_e32 v22, v22, v21
	;; [unrolled: 1-line block ×4, first 2 shown]
	v_fma_f32 v23, 0x3df6dbef, v28, -v113
	v_fma_f32 v122, 0xbf788fa5, v29, -v62
	v_fma_f32 v14, 0xbf788fa5, v30, -v84
	s_delay_alu instid0(VALU_DEP_4) | instskip(NEXT) | instid1(VALU_DEP_4)
	v_dual_add_f32 v8, v8, v13 :: v_dual_add_f32 v21, v91, v20
	v_dual_fmamk_f32 v20, v30, 0x3df6dbef, v65 :: v_dual_add_f32 v23, v23, v0
	v_mul_f32_e32 v64, 0xbe750f2a, v64
	v_mul_f32_e32 v91, 0x3f52af12, v80
	s_delay_alu instid0(VALU_DEP_4) | instskip(NEXT) | instid1(VALU_DEP_4)
	v_add_f32_e32 v8, v10, v8
	v_dual_add_f32 v20, v20, v1 :: v_dual_add_f32 v23, v122, v23
	v_fma_f32 v122, 0xbeb58ec6, v32, -v67
	s_delay_alu instid0(VALU_DEP_4) | instskip(NEXT) | instid1(VALU_DEP_4)
	v_fma_f32 v124, 0x3f116cb1, v38, -v91
	v_dual_add_f32 v4, v4, v8 :: v_dual_add_f32 v13, v14, v1
	v_fma_f32 v14, 0x3f62ad3f, v31, -v85
	s_delay_alu instid0(VALU_DEP_4) | instskip(SKIP_4) | instid1(VALU_DEP_4)
	v_add_f32_e32 v23, v122, v23
	v_fma_f32 v122, 0x3f62ad3f, v34, -v78
	v_fmamk_f32 v58, v31, 0xbf788fa5, v64
	v_dual_add_f32 v4, v6, v4 :: v_dual_add_f32 v9, v11, v9
	v_fma_f32 v10, 0xbf3f9e67, v33, -v86
	v_dual_add_f32 v23, v122, v23 :: v_dual_mul_f32 v122, 0x3f116cb1, v30
	s_delay_alu instid0(VALU_DEP_4) | instskip(NEXT) | instid1(VALU_DEP_4)
	v_add_f32_e32 v20, v58, v20
	v_dual_add_f32 v4, v24, v4 :: v_dual_add_f32 v5, v5, v9
	v_add_f32_e32 v9, v14, v13
	s_delay_alu instid0(VALU_DEP_4) | instskip(SKIP_2) | instid1(VALU_DEP_3)
	v_dual_add_f32 v53, v53, v122 :: v_dual_add_f32 v122, v126, v23
	v_mul_f32_e32 v23, 0x3f116cb1, v28
	v_dual_fmamk_f32 v58, v33, 0xbeb58ec6, v74 :: v_dual_add_f32 v13, v88, v0
	v_add_f32_e32 v53, v53, v1
	v_add_f32_e32 v5, v7, v5
	s_delay_alu instid0(VALU_DEP_3) | instskip(SKIP_2) | instid1(VALU_DEP_3)
	v_dual_sub_f32 v23, v23, v50 :: v_dual_add_f32 v20, v58, v20
	v_dual_fmamk_f32 v58, v35, 0x3f62ad3f, v79 :: v_dual_add_f32 v7, v10, v9
	v_fma_f32 v10, 0x3df6dbef, v31, -v100
	v_add_f32_e32 v23, v23, v0
	v_fma_f32 v8, 0x3f116cb1, v35, -v87
	s_delay_alu instid0(VALU_DEP_4)
	v_add_f32_e32 v58, v58, v20
	v_add_f32_e32 v20, v124, v22
	v_mul_f32_e32 v22, 0xbeb58ec6, v31
	v_mul_f32_e32 v124, 0xbeb58ec6, v29
	v_fma_f32 v14, 0xbf3f9e67, v31, -v109
	v_add_f32_e32 v58, v125, v58
	v_fmac_f32_e32 v108, 0xbf788fa5, v34
	v_dual_add_f32 v22, v59, v22 :: v_dual_mul_f32 v59, 0xbf788fa5, v33
	v_dual_sub_f32 v55, v124, v55 :: v_dual_mul_f32 v80, 0xbf29c268, v80
	v_fmac_f32_e32 v103, 0x3df6dbef, v29
	s_delay_alu instid0(VALU_DEP_3) | instskip(NEXT) | instid1(VALU_DEP_4)
	v_dual_add_f32 v9, v90, v13 :: v_dual_add_f32 v50, v61, v59
	v_dual_mul_f32 v61, 0xbf788fa5, v32 :: v_dual_add_f32 v22, v22, v53
	v_fmamk_f32 v59, v39, 0xbf3f9e67, v83
	v_mul_f32_e32 v53, 0xbf3f9e67, v35
	v_add_f32_e32 v23, v55, v23
	s_delay_alu instid0(VALU_DEP_4) | instskip(NEXT) | instid1(VALU_DEP_3)
	v_dual_sub_f32 v55, v61, v57 :: v_dual_add_f32 v22, v50, v22
	v_dual_mul_f32 v57, 0xbf3f9e67, v34 :: v_dual_add_f32 v50, v66, v53
	v_mul_f32_e32 v53, 0x3df6dbef, v37
	v_fma_f32 v61, 0xbf3f9e67, v38, -v80
	s_delay_alu instid0(VALU_DEP_4) | instskip(SKIP_1) | instid1(VALU_DEP_4)
	v_add_f32_e32 v55, v55, v23
	v_dual_add_f32 v23, v59, v58 :: v_dual_mul_f32 v58, 0x3df6dbef, v36
	v_dual_add_f32 v50, v50, v22 :: v_dual_add_f32 v53, v73, v53
	v_sub_f32_e32 v57, v57, v60
	v_add_f32_e32 v22, v61, v122
	s_delay_alu instid0(VALU_DEP_4) | instskip(SKIP_4) | instid1(VALU_DEP_4)
	v_sub_f32_e32 v58, v58, v63
	v_mul_f32_e32 v60, 0x3f116cb1, v31
	v_add_f32_e32 v50, v53, v50
	v_add_f32_e32 v53, v57, v55
	v_mul_f32_e32 v55, 0x3f62ad3f, v39
	v_dual_mul_f32 v57, 0x3f62ad3f, v30 :: v_dual_add_f32 v44, v44, v60
	v_add_f32_e32 v6, v8, v7
	v_fma_f32 v7, 0xbeb58ec6, v37, -v89
	s_delay_alu instid0(VALU_DEP_4)
	v_add_f32_e32 v55, v71, v55
	v_add_f32_e32 v53, v58, v53
	;; [unrolled: 1-line block ×3, first 2 shown]
	v_fma_f32 v9, 0xbf3f9e67, v30, -v98
	v_add_f32_e32 v6, v7, v6
	v_add_f32_e32 v58, v55, v50
	v_dual_mul_f32 v50, 0x3f62ad3f, v28 :: v_dual_mul_f32 v59, 0x3f62ad3f, v38
	v_add_f32_e32 v41, v41, v57
	v_fma_f32 v7, 0x3df6dbef, v39, -v93
	v_add_f32_e32 v8, v95, v8
	s_delay_alu instid0(VALU_DEP_4) | instskip(SKIP_2) | instid1(VALU_DEP_3)
	v_dual_sub_f32 v40, v50, v40 :: v_dual_sub_f32 v57, v59, v70
	v_mul_f32_e32 v59, 0x3df6dbef, v33
	v_dual_add_f32 v41, v41, v1 :: v_dual_mul_f32 v50, 0xbeb58ec6, v34
	v_dual_add_f32 v40, v40, v0 :: v_dual_add_f32 v9, v9, v1
	v_add_f32_e32 v7, v7, v6
	s_delay_alu instid0(VALU_DEP_3) | instskip(SKIP_4) | instid1(VALU_DEP_3)
	v_add_f32_e32 v41, v44, v41
	v_dual_add_f32 v44, v48, v59 :: v_dual_add_f32 v57, v57, v53
	v_mul_f32_e32 v53, 0x3f116cb1, v29
	v_dual_mul_f32 v48, 0x3df6dbef, v32 :: v_dual_sub_f32 v17, v50, v45
	v_dual_add_f32 v6, v94, v8 :: v_dual_add_f32 v5, v25, v5
	v_dual_sub_f32 v42, v53, v42 :: v_dual_mul_f32 v55, 0xbeb58ec6, v35
	v_mul_f32_e32 v53, 0xbf3f9e67, v37
	s_delay_alu instid0(VALU_DEP_4) | instskip(NEXT) | instid1(VALU_DEP_3)
	v_sub_f32_e32 v43, v48, v43
	v_dual_add_f32 v41, v44, v41 :: v_dual_add_f32 v40, v42, v40
	v_mul_f32_e32 v42, 0xbf788fa5, v39
	v_add_f32_e32 v49, v49, v55
	v_mul_f32_e32 v55, 0xbf788fa5, v38
	v_mul_f32_e32 v44, 0xbf3f9e67, v36
	v_add_f32_e32 v40, v43, v40
	v_add_f32_e32 v8, v10, v9
	;; [unrolled: 1-line block ×4, first 2 shown]
	v_fma_f32 v9, 0x3f116cb1, v33, -v99
	v_dual_add_f32 v16, v17, v40 :: v_dual_sub_f32 v17, v44, v51
	v_fma_f32 v13, 0xbeb58ec6, v30, -v111
	v_dual_fmac_f32 v119, 0x3f62ad3f, v32 :: v_dual_fmac_f32 v78, 0x3f62ad3f, v34
	v_fmac_f32_e32 v67, 0xbeb58ec6, v32
	s_delay_alu instid0(VALU_DEP_4) | instskip(SKIP_3) | instid1(VALU_DEP_4)
	v_dual_add_f32 v15, v17, v16 :: v_dual_sub_f32 v16, v55, v54
	v_dual_add_f32 v18, v41, v19 :: v_dual_add_f32 v19, v56, v42
	v_add_f32_e32 v13, v13, v1
	v_fma_f32 v17, 0xbf3f9e67, v39, -v83
	v_add_f32_e32 v11, v16, v15
	v_fma_f32 v15, 0x3df6dbef, v30, -v65
	s_delay_alu instid0(VALU_DEP_4)
	v_dual_add_f32 v12, v19, v18 :: v_dual_add_f32 v13, v14, v13
	v_add_f32_e32 v10, v96, v0
	v_add_f32_e32 v8, v9, v8
	v_fma_f32 v9, 0xbf788fa5, v35, -v104
	v_fma_f32 v14, 0x3f62ad3f, v33, -v114
	v_dual_add_f32 v1, v15, v1 :: v_dual_fmac_f32 v102, 0x3df6dbef, v34
	v_add_f32_e32 v10, v103, v10
	s_delay_alu instid0(VALU_DEP_4)
	v_add_f32_e32 v8, v9, v8
	v_fma_f32 v9, 0x3f62ad3f, v37, -v107
	v_add_f32_e32 v13, v14, v13
	v_fma_f32 v14, 0x3df6dbef, v35, -v118
	;; [unrolled: 2-line block ×4, first 2 shown]
	v_add_f32_e32 v6, v101, v6
	v_dual_add_f32 v10, v108, v10 :: v_dual_fmac_f32 v113, 0x3df6dbef, v28
	v_fmac_f32_e32 v105, 0xbeb58ec6, v38
	s_delay_alu instid0(VALU_DEP_4) | instskip(NEXT) | instid1(VALU_DEP_3)
	v_dual_add_f32 v9, v9, v8 :: v_dual_fmac_f32 v62, 0xbf788fa5, v29
	v_add_f32_e32 v8, v110, v10
	v_add_f32_e32 v10, v14, v13
	v_fma_f32 v13, 0xbf788fa5, v37, -v120
	v_add_f32_e32 v14, v115, v0
	v_dual_add_f32 v0, v113, v0 :: v_dual_fmac_f32 v117, 0xbf3f9e67, v29
	v_add_f32_e32 v8, v105, v8
	s_delay_alu instid0(VALU_DEP_4) | instskip(SKIP_1) | instid1(VALU_DEP_4)
	v_add_f32_e32 v10, v13, v10
	v_and_b32_e32 v16, 0xffff, v77
	v_dual_add_f32 v0, v62, v0 :: v_dual_add_f32 v13, v117, v14
	v_fma_f32 v14, 0xbf788fa5, v31, -v64
	v_fmac_f32_e32 v80, 0xbf3f9e67, v38
	s_delay_alu instid0(VALU_DEP_3) | instskip(NEXT) | instid1(VALU_DEP_4)
	v_dual_fmac_f32 v91, 0x3f116cb1, v38 :: v_dual_add_f32 v0, v67, v0
	v_add_f32_e32 v13, v119, v13
	s_delay_alu instid0(VALU_DEP_4) | instskip(SKIP_4) | instid1(VALU_DEP_4)
	v_add_f32_e32 v1, v14, v1
	v_fma_f32 v14, 0xbeb58ec6, v33, -v74
	v_fmac_f32_e32 v121, 0xbf788fa5, v36
	v_add_f32_e32 v0, v78, v0
	v_add_f32_e32 v13, v102, v13
	v_add_f32_e32 v1, v14, v1
	v_fma_f32 v14, 0x3f62ad3f, v35, -v79
	s_delay_alu instid0(VALU_DEP_1) | instskip(SKIP_1) | instid1(VALU_DEP_1)
	v_dual_add_f32 v18, v81, v0 :: v_dual_add_f32 v1, v14, v1
	v_fma_f32 v14, 0x3f116cb1, v37, -v82
	v_dual_add_f32 v14, v14, v1 :: v_dual_add_f32 v1, v15, v10
	v_dual_add_f32 v13, v121, v13 :: v_dual_lshlrev_b32 v16, 3, v16
	s_delay_alu instid0(VALU_DEP_2) | instskip(NEXT) | instid1(VALU_DEP_2)
	v_add_f32_e32 v14, v17, v14
	v_dual_add_f32 v0, v91, v13 :: v_dual_add_f32 v13, v80, v18
	ds_store_2addr_b64 v16, v[4:5], v[11:12] offset1:1
	ds_store_2addr_b64 v16, v[57:58], v[22:23] offset0:2 offset1:3
	ds_store_2addr_b64 v16, v[20:21], v[2:3] offset0:4 offset1:5
	;; [unrolled: 1-line block ×5, first 2 shown]
	ds_store_b64 v16, v[68:69] offset:96
.LBB0_7:
	s_or_b32 exec_lo, exec_lo, s4
	v_and_b32_e32 v0, 0xff, v76
	s_load_b128 s[4:7], s[2:3], 0x0
	s_waitcnt lgkmcnt(0)
	s_barrier
	buffer_gl0_inv
	v_mul_lo_u16 v0, 0x4f, v0
	s_delay_alu instid0(VALU_DEP_1) | instskip(NEXT) | instid1(VALU_DEP_1)
	v_lshrrev_b16 v33, 10, v0
	v_mul_lo_u16 v0, v33, 13
	s_delay_alu instid0(VALU_DEP_1) | instskip(NEXT) | instid1(VALU_DEP_1)
	v_sub_nc_u16 v0, v76, v0
	v_and_b32_e32 v43, 0xff, v0
	s_delay_alu instid0(VALU_DEP_1) | instskip(NEXT) | instid1(VALU_DEP_1)
	v_mul_u32_u24_e32 v0, 10, v43
	v_lshlrev_b32_e32 v8, 3, v0
	s_clause 0x4
	global_load_b128 v[16:19], v8, s[0:1]
	global_load_b128 v[12:15], v8, s[0:1] offset:16
	global_load_b128 v[4:7], v8, s[0:1] offset:32
	;; [unrolled: 1-line block ×4, first 2 shown]
	v_add_nc_u32_e32 v32, 0x800, v75
	v_add_nc_u32_e32 v24, 0x1400, v75
	;; [unrolled: 1-line block ×4, first 2 shown]
	ds_load_2addr_b64 v[20:23], v75 offset1:169
	ds_load_2addr_b64 v[28:31], v32 offset0:82 offset1:251
	v_and_b32_e32 v37, 0xffff, v33
	ds_load_2addr_b64 v[24:27], v24 offset0:36 offset1:205
	ds_load_2addr_b64 v[33:36], v34 offset0:54 offset1:223
	s_waitcnt vmcnt(4) lgkmcnt(2)
	v_mul_f32_e32 v48, v28, v19
	v_mul_u32_u24_e32 v44, 0x8f, v37
	ds_load_2addr_b64 v[37:40], v38 offset0:72 offset1:241
	ds_load_b64 v[41:42], v75 offset:13520
	s_waitcnt vmcnt(2) lgkmcnt(3)
	v_mul_f32_e32 v54, v26, v5
	v_dual_mul_f32 v50, v30, v13 :: v_dual_mul_f32 v51, v25, v15
	v_add_lshl_u32 v78, v44, v43, 3
	v_mul_f32_e32 v43, v23, v17
	v_mul_f32_e32 v44, v22, v17
	s_waitcnt vmcnt(1) lgkmcnt(2)
	v_dual_mul_f32 v55, v34, v7 :: v_dual_mul_f32 v58, v35, v1
	v_mul_f32_e32 v57, v36, v1
	v_mul_f32_e32 v45, v29, v19
	;; [unrolled: 1-line block ×4, first 2 shown]
	v_fma_f32 v22, v22, v16, -v43
	v_fmac_f32_e32 v58, v36, v0
	v_mul_f32_e32 v56, v33, v7
	s_waitcnt vmcnt(0) lgkmcnt(0)
	s_barrier
	buffer_gl0_inv
	v_dual_mul_f32 v59, v38, v3 :: v_dual_mul_f32 v70, v39, v9
	v_mul_f32_e32 v71, v41, v11
	v_mul_f32_e32 v52, v24, v15
	;; [unrolled: 1-line block ×3, first 2 shown]
	v_fma_f32 v24, v24, v14, -v51
	s_delay_alu instid0(VALU_DEP_4)
	v_dual_fmac_f32 v70, v40, v8 :: v_dual_fmac_f32 v71, v42, v10
	v_fmac_f32_e32 v48, v29, v18
	v_mul_f32_e32 v62, v42, v11
	v_mul_f32_e32 v60, v37, v3
	v_fmac_f32_e32 v54, v27, v4
	v_fma_f32 v27, v35, v0, -v57
	v_fmac_f32_e32 v50, v31, v12
	v_fma_f32 v31, v41, v10, -v62
	;; [unrolled: 2-line block ×3, first 2 shown]
	v_fma_f32 v28, v30, v12, -v49
	v_fma_f32 v29, v37, v2, -v59
	v_add_f32_e32 v35, v22, v31
	v_fma_f32 v30, v39, v8, -v61
	v_sub_f32_e32 v37, v44, v71
	v_add_f32_e32 v39, v48, v70
	v_dual_fmac_f32 v60, v38, v2 :: v_dual_add_f32 v49, v24, v27
	v_fmac_f32_e32 v52, v25, v14
	v_fma_f32 v25, v26, v4, -v53
	v_fma_f32 v26, v33, v6, -v55
	v_add_f32_e32 v33, v20, v22
	v_dual_fmac_f32 v56, v34, v6 :: v_dual_sub_f32 v53, v24, v27
	v_dual_sub_f32 v22, v22, v31 :: v_dual_mul_f32 v63, 0xbf68dda4, v37
	v_add_f32_e32 v38, v23, v30
	v_sub_f32_e32 v40, v23, v30
	v_add_f32_e32 v57, v25, v26
	v_sub_f32_e32 v61, v25, v26
	v_sub_f32_e32 v41, v48, v70
	v_add_f32_e32 v23, v33, v23
	v_add_f32_e32 v43, v50, v60
	v_dual_add_f32 v34, v21, v44 :: v_dual_sub_f32 v55, v52, v58
	v_dual_add_f32 v36, v44, v71 :: v_dual_sub_f32 v45, v50, v60
	v_dual_add_f32 v42, v28, v29 :: v_dual_mul_f32 v73, 0xbf4178ce, v22
	v_dual_add_f32 v51, v52, v58 :: v_dual_sub_f32 v62, v54, v56
	v_mul_f32_e32 v65, 0xbf7d64f0, v37
	v_dual_add_f32 v33, v34, v48 :: v_dual_sub_f32 v44, v28, v29
	v_mul_f32_e32 v79, 0xbf68dda4, v40
	v_mul_f32_e32 v34, 0xbf0a6770, v37
	;; [unrolled: 1-line block ×4, first 2 shown]
	v_dual_mul_f32 v80, 0xbf4178ce, v41 :: v_dual_mul_f32 v81, 0xbf4178ce, v40
	v_fma_f32 v110, 0x3ed4b147, v35, -v63
	v_dual_mul_f32 v74, 0xbf68dda4, v41 :: v_dual_add_f32 v59, v54, v56
	v_dual_mul_f32 v48, 0xbf0a6770, v22 :: v_dual_mul_f32 v99, 0xbf0a6770, v53
	v_dual_mul_f32 v64, 0xbf68dda4, v22 :: v_dual_add_f32 v23, v23, v28
	v_dual_mul_f32 v66, 0xbf7d64f0, v22 :: v_dual_mul_f32 v87, 0xbf7d64f0, v44
	v_mul_f32_e32 v22, 0xbe903f40, v22
	v_dual_mul_f32 v82, 0x3e903f40, v41 :: v_dual_mul_f32 v83, 0x3e903f40, v40
	v_dual_mul_f32 v84, 0x3f7d64f0, v41 :: v_dual_mul_f32 v85, 0x3f7d64f0, v40
	;; [unrolled: 1-line block ×6, first 2 shown]
	v_mul_f32_e32 v93, 0xbf0a6770, v44
	v_mul_f32_e32 v44, 0xbf4178ce, v44
	v_dual_mul_f32 v94, 0xbf4178ce, v55 :: v_dual_mul_f32 v95, 0xbf4178ce, v53
	v_mul_f32_e32 v106, 0xbf4178ce, v62
	v_dual_mul_f32 v96, 0x3f7d64f0, v55 :: v_dual_mul_f32 v97, 0x3f7d64f0, v53
	v_dual_mul_f32 v100, 0xbe903f40, v55 :: v_dual_mul_f32 v101, 0xbe903f40, v53
	v_dual_mul_f32 v53, 0x3f68dda4, v53 :: v_dual_add_f32 v28, v33, v50
	v_dual_mul_f32 v102, 0xbe903f40, v62 :: v_dual_mul_f32 v103, 0xbe903f40, v61
	v_dual_mul_f32 v104, 0x3f0a6770, v62 :: v_dual_mul_f32 v105, 0x3f0a6770, v61
	v_mul_f32_e32 v108, 0x3f68dda4, v62
	v_fma_f32 v33, 0x3f575c64, v35, -v34
	v_mul_f32_e32 v98, 0xbf0a6770, v55
	v_mul_f32_e32 v55, 0x3f68dda4, v55
	v_dual_fmac_f32 v34, 0x3f575c64, v35 :: v_dual_fmamk_f32 v131, v43, 0x3f575c64, v93
	v_fmac_f32_e32 v63, 0x3ed4b147, v35
	v_fma_f32 v112, 0xbe11bafb, v35, -v65
	v_fmac_f32_e32 v65, 0xbe11bafb, v35
	v_fma_f32 v114, 0xbf27a4f4, v35, -v67
	v_fmamk_f32 v115, v36, 0xbf27a4f4, v73
	v_fmac_f32_e32 v67, 0xbf27a4f4, v35
	v_fma_f32 v116, 0xbf75a155, v35, -v37
	v_fmac_f32_e32 v37, 0xbf75a155, v35
	v_fma_f32 v35, 0x3ed4b147, v38, -v74
	v_fmac_f32_e32 v74, 0x3ed4b147, v38
	v_dual_mul_f32 v92, 0xbf0a6770, v45 :: v_dual_add_f32 v63, v20, v63
	v_mul_f32_e32 v45, 0xbf4178ce, v45
	v_fma_f32 v118, 0xbf27a4f4, v38, -v80
	v_fmac_f32_e32 v80, 0xbf27a4f4, v38
	v_mul_f32_e32 v62, 0x3f68dda4, v61
	v_fmamk_f32 v50, v36, 0x3f575c64, v48
	v_fma_f32 v48, 0x3f575c64, v36, -v48
	v_fmamk_f32 v111, v36, 0x3ed4b147, v64
	v_fma_f32 v64, 0x3ed4b147, v36, -v64
	v_fmamk_f32 v113, v36, 0xbe11bafb, v66
	v_fma_f32 v66, 0xbe11bafb, v36, -v66
	v_fma_f32 v73, 0xbf27a4f4, v36, -v73
	v_dual_fmamk_f32 v117, v36, 0xbf75a155, v22 :: v_dual_add_f32 v48, v21, v48
	v_fma_f32 v22, 0xbf75a155, v36, -v22
	v_fma_f32 v120, 0xbf75a155, v38, -v82
	v_fmac_f32_e32 v82, 0xbf75a155, v38
	v_fma_f32 v124, 0x3f575c64, v38, -v41
	v_fmac_f32_e32 v41, 0x3f575c64, v38
	v_dual_mul_f32 v107, 0xbf4178ce, v61 :: v_dual_add_f32 v50, v21, v50
	v_dual_mul_f32 v61, 0xbf7d64f0, v61 :: v_dual_add_f32 v34, v20, v34
	v_fmamk_f32 v147, v59, 0x3ed4b147, v62
	v_add_f32_e32 v23, v23, v24
	v_add_f32_e32 v24, v28, v52
	v_fmamk_f32 v36, v39, 0x3ed4b147, v79
	v_fma_f32 v79, 0x3ed4b147, v39, -v79
	v_fmamk_f32 v119, v39, 0xbf27a4f4, v81
	v_fma_f32 v81, 0xbf27a4f4, v39, -v81
	;; [unrolled: 2-line block ×3, first 2 shown]
	v_fma_f32 v122, 0xbe11bafb, v38, -v84
	v_dual_fmamk_f32 v123, v39, 0xbe11bafb, v85 :: v_dual_fmac_f32 v84, 0xbe11bafb, v38
	v_fma_f32 v85, 0xbe11bafb, v39, -v85
	v_fmamk_f32 v125, v39, 0x3f575c64, v40
	v_fma_f32 v38, 0x3f575c64, v39, -v40
	v_fma_f32 v39, 0xbe11bafb, v42, -v86
	v_fmamk_f32 v40, v43, 0xbe11bafb, v87
	v_fmac_f32_e32 v86, 0xbe11bafb, v42
	v_fma_f32 v87, 0xbe11bafb, v43, -v87
	v_fma_f32 v126, 0xbf75a155, v42, -v88
	v_dual_fmamk_f32 v127, v43, 0xbf75a155, v89 :: v_dual_fmac_f32 v88, 0xbf75a155, v42
	v_fma_f32 v89, 0xbf75a155, v43, -v89
	v_fma_f32 v128, 0x3ed4b147, v42, -v90
	v_dual_fmamk_f32 v129, v43, 0x3ed4b147, v91 :: v_dual_fmac_f32 v90, 0x3ed4b147, v42
	v_fma_f32 v91, 0x3ed4b147, v43, -v91
	v_fma_f32 v130, 0x3f575c64, v42, -v92
	v_dual_fmac_f32 v92, 0x3f575c64, v42 :: v_dual_fmamk_f32 v137, v51, 0x3f575c64, v99
	v_fma_f32 v93, 0x3f575c64, v43, -v93
	v_fma_f32 v132, 0xbf27a4f4, v42, -v45
	v_dual_fmamk_f32 v133, v43, 0xbf27a4f4, v44 :: v_dual_add_f32 v64, v21, v64
	v_fmac_f32_e32 v45, 0xbf27a4f4, v42
	v_fma_f32 v42, 0xbf27a4f4, v43, -v44
	v_fma_f32 v43, 0xbf27a4f4, v49, -v94
	v_fmamk_f32 v44, v51, 0xbf27a4f4, v95
	v_fmac_f32_e32 v94, 0xbf27a4f4, v49
	v_fma_f32 v95, 0xbf27a4f4, v51, -v95
	v_fma_f32 v134, 0xbe11bafb, v49, -v96
	v_dual_fmamk_f32 v135, v51, 0xbe11bafb, v97 :: v_dual_fmac_f32 v96, 0xbe11bafb, v49
	v_fma_f32 v97, 0xbe11bafb, v51, -v97
	v_fma_f32 v99, 0x3f575c64, v51, -v99
	;; [unrolled: 1-line block ×3, first 2 shown]
	v_dual_fmamk_f32 v139, v51, 0xbf75a155, v101 :: v_dual_fmac_f32 v100, 0xbf75a155, v49
	v_fma_f32 v101, 0xbf75a155, v51, -v101
	v_fma_f32 v140, 0x3ed4b147, v49, -v55
	v_dual_fmac_f32 v55, 0x3ed4b147, v49 :: v_dual_add_f32 v66, v21, v66
	v_fma_f32 v141, 0x3f575c64, v57, -v104
	v_dual_fmac_f32 v104, 0x3f575c64, v57 :: v_dual_add_f32 v67, v20, v67
	v_fma_f32 v142, 0xbf27a4f4, v57, -v106
	v_fmac_f32_e32 v106, 0xbf27a4f4, v57
	v_fma_f32 v143, 0x3ed4b147, v57, -v108
	v_fmac_f32_e32 v108, 0x3ed4b147, v57
	;; [unrolled: 2-line block ×3, first 2 shown]
	v_fmamk_f32 v145, v59, 0x3f575c64, v105
	v_fma_f32 v105, 0x3f575c64, v59, -v105
	v_dual_fmamk_f32 v146, v59, 0xbf27a4f4, v107 :: v_dual_add_f32 v65, v20, v65
	v_fma_f32 v107, 0xbf27a4f4, v59, -v107
	v_fma_f32 v148, 0x3ed4b147, v59, -v62
	v_dual_fmamk_f32 v149, v59, 0xbe11bafb, v61 :: v_dual_add_f32 v28, v21, v117
	v_fma_f32 v61, 0xbe11bafb, v59, -v61
	v_add_f32_e32 v33, v20, v33
	v_fma_f32 v136, 0x3f575c64, v49, -v98
	v_fmac_f32_e32 v98, 0x3f575c64, v49
	v_fmamk_f32 v49, v51, 0x3ed4b147, v53
	v_fma_f32 v51, 0x3ed4b147, v51, -v53
	v_fma_f32 v53, 0xbf75a155, v57, -v102
	v_dual_fmac_f32 v102, 0xbf75a155, v57 :: v_dual_fmamk_f32 v57, v59, 0xbf75a155, v103
	v_fma_f32 v103, 0xbf75a155, v59, -v103
	v_dual_add_f32 v59, v20, v110 :: v_dual_add_f32 v62, v21, v111
	v_dual_add_f32 v110, v20, v112 :: v_dual_add_f32 v111, v21, v113
	v_add_f32_e32 v112, v20, v114
	v_dual_add_f32 v114, v20, v116 :: v_dual_add_f32 v113, v21, v115
	v_add_f32_e32 v73, v21, v73
	v_dual_add_f32 v20, v20, v37 :: v_dual_add_f32 v21, v21, v22
	v_dual_add_f32 v22, v23, v25 :: v_dual_add_f32 v23, v24, v54
	;; [unrolled: 1-line block ×6, first 2 shown]
	v_add_f32_e32 v54, v82, v65
	v_add_f32_e32 v48, v81, v64
	v_dual_add_f32 v64, v84, v67 :: v_dual_add_f32 v65, v85, v73
	v_dual_add_f32 v22, v22, v26 :: v_dual_add_f32 v23, v23, v56
	;; [unrolled: 1-line block ×6, first 2 shown]
	v_add_f32_e32 v20, v41, v20
	s_delay_alu instid0(VALU_DEP_3)
	v_dual_add_f32 v24, v39, v24 :: v_dual_add_f32 v21, v42, v21
	v_dual_add_f32 v26, v86, v33 :: v_dual_add_f32 v33, v87, v34
	;; [unrolled: 1-line block ×8, first 2 shown]
	v_add_f32_e32 v50, v131, v63
	v_add_f32_e32 v22, v22, v27
	;; [unrolled: 1-line block ×3, first 2 shown]
	v_dual_add_f32 v26, v94, v26 :: v_dual_add_f32 v23, v23, v60
	v_add_f32_e32 v27, v95, v33
	v_add_f32_e32 v54, v93, v65
	;; [unrolled: 1-line block ×3, first 2 shown]
	v_dual_add_f32 v20, v45, v20 :: v_dual_add_f32 v21, v51, v21
	v_dual_add_f32 v33, v134, v34 :: v_dual_add_f32 v34, v135, v35
	;; [unrolled: 1-line block ×3, first 2 shown]
	v_add_f32_e32 v45, v103, v27
	v_dual_add_f32 v42, v139, v50 :: v_dual_add_f32 v51, v57, v25
	v_dual_add_f32 v50, v53, v24 :: v_dual_add_f32 v23, v23, v70
	v_add_f32_e32 v56, v132, v66
	v_dual_add_f32 v37, v136, v38 :: v_dual_add_f32 v38, v137, v39
	v_dual_add_f32 v39, v98, v40 :: v_dual_add_f32 v40, v99, v41
	v_add_f32_e32 v41, v138, v48
	v_add_f32_e32 v57, v145, v34
	v_dual_add_f32 v43, v100, v52 :: v_dual_add_f32 v48, v101, v54
	v_dual_add_f32 v20, v55, v20 :: v_dual_add_f32 v61, v61, v21
	v_add_f32_e32 v55, v105, v36
	v_dual_add_f32 v28, v49, v28 :: v_dual_add_f32 v65, v147, v42
	v_dual_add_f32 v49, v23, v71 :: v_dual_add_f32 v22, v22, v29
	v_add_f32_e32 v63, v148, v48
	v_add_f32_e32 v53, v107, v40
	v_dual_add_f32 v66, v140, v56 :: v_dual_add_f32 v59, v146, v38
	s_delay_alu instid0(VALU_DEP_4)
	v_add_f32_e32 v22, v22, v30
	v_dual_add_f32 v44, v102, v26 :: v_dual_add_f32 v67, v149, v28
	v_add_f32_e32 v56, v141, v33
	v_add_f32_e32 v54, v104, v35
	v_add_f32_e32 v58, v142, v37
	v_add_f32_e32 v52, v106, v39
	v_add_f32_e32 v64, v143, v41
	v_add_f32_e32 v62, v108, v43
	v_add_f32_e32 v66, v144, v66
	v_add_f32_e32 v60, v109, v20
	v_add_f32_e32 v48, v22, v31
	ds_store_2addr_b64 v78, v[56:57], v[58:59] offset0:26 offset1:39
	ds_store_2addr_b64 v78, v[64:65], v[66:67] offset0:52 offset1:65
	;; [unrolled: 1-line block ×4, first 2 shown]
	ds_store_b64 v78, v[44:45] offset:1040
	ds_store_2addr_b64 v78, v[48:49], v[50:51] offset1:13
	s_waitcnt lgkmcnt(0)
	s_barrier
	buffer_gl0_inv
	s_and_saveexec_b32 s2, vcc_lo
	s_cbranch_execz .LBB0_9
; %bb.8:
	v_add_nc_u32_e32 v20, 0x1000, v75
	v_add_nc_u32_e32 v21, 0x1800, v75
	;; [unrolled: 1-line block ×4, first 2 shown]
	ds_load_2addr_b64 v[48:51], v75 offset1:143
	ds_load_2addr_b64 v[56:59], v32 offset0:30 offset1:173
	ds_load_2addr_b64 v[64:67], v20 offset0:60 offset1:203
	;; [unrolled: 1-line block ×5, first 2 shown]
	ds_load_b64 v[68:69], v75 offset:13728
.LBB0_9:
	s_or_b32 exec_lo, exec_lo, s2
	v_add_nc_u32_e32 v20, 0xffffff71, v76
	s_delay_alu instid0(VALU_DEP_1) | instskip(NEXT) | instid1(VALU_DEP_1)
	v_cndmask_b32_e32 v20, v20, v76, vcc_lo
	v_mul_i32_i24_e32 v21, 0x60, v20
	v_mul_hi_i32_i24_e32 v20, 0x60, v20
	s_delay_alu instid0(VALU_DEP_2) | instskip(NEXT) | instid1(VALU_DEP_1)
	v_add_co_u32 v40, s0, s0, v21
	v_add_co_ci_u32_e64 v41, s0, s1, v20, s0
	s_clause 0x5
	global_load_b128 v[36:39], v[40:41], off offset:1040
	global_load_b128 v[28:31], v[40:41], off offset:1056
	;; [unrolled: 1-line block ×6, first 2 shown]
	s_waitcnt vmcnt(5) lgkmcnt(5)
	v_mul_f32_e32 v87, v57, v39
	v_mul_f32_e32 v85, v51, v37
	s_waitcnt vmcnt(4) lgkmcnt(4)
	v_dual_mul_f32 v86, v50, v37 :: v_dual_mul_f32 v83, v64, v31
	v_dual_mul_f32 v88, v56, v39 :: v_dual_mul_f32 v89, v59, v29
	s_waitcnt vmcnt(2) lgkmcnt(3)
	v_dual_mul_f32 v70, v60, v27 :: v_dual_mul_f32 v71, v62, v21
	s_waitcnt vmcnt(1) lgkmcnt(1)
	;; [unrolled: 2-line block ×3, first 2 shown]
	v_dual_mul_f32 v79, v46, v41 :: v_dual_mul_f32 v98, v69, v43
	v_dual_mul_f32 v80, v68, v43 :: v_dual_fmac_f32 v71, v63, v20
	v_dual_mul_f32 v84, v58, v29 :: v_dual_mul_f32 v81, v52, v23
	v_dual_mul_f32 v90, v65, v31 :: v_dual_mul_f32 v91, v67, v25
	v_dual_mul_f32 v82, v66, v25 :: v_dual_fmac_f32 v83, v65, v30
	v_dual_mul_f32 v92, v61, v27 :: v_dual_mul_f32 v93, v63, v21
	v_dual_mul_f32 v94, v53, v23 :: v_dual_mul_f32 v95, v55, v33
	;; [unrolled: 1-line block ×3, first 2 shown]
	v_fma_f32 v99, v50, v36, -v85
	v_dual_fmac_f32 v86, v51, v36 :: v_dual_fmac_f32 v81, v53, v22
	v_dual_fmac_f32 v88, v57, v38 :: v_dual_fmac_f32 v73, v55, v32
	v_dual_fmac_f32 v70, v61, v26 :: v_dual_fmac_f32 v79, v47, v40
	v_fma_f32 v50, v44, v34, -v96
	v_fma_f32 v44, v68, v42, -v98
	v_fmac_f32_e32 v80, v69, v42
	v_fma_f32 v87, v56, v38, -v87
	v_sub_f32_e32 v65, v88, v79
	v_fma_f32 v85, v58, v28, -v89
	v_dual_fmac_f32 v84, v59, v28 :: v_dual_add_f32 v61, v49, v86
	v_fma_f32 v58, v66, v24, -v91
	v_dual_fmac_f32 v82, v67, v24 :: v_dual_add_f32 v55, v88, v79
	v_fma_f32 v57, v60, v26, -v92
	v_fma_f32 v56, v62, v20, -v93
	v_fma_f32 v52, v52, v22, -v94
	v_dual_fmac_f32 v74, v45, v34 :: v_dual_add_f32 v47, v86, v80
	v_fma_f32 v45, v46, v40, -v97
	v_dual_add_f32 v60, v48, v99 :: v_dual_sub_f32 v63, v86, v80
	v_dual_sub_f32 v62, v99, v44 :: v_dual_add_f32 v53, v82, v81
	v_fma_f32 v59, v64, v30, -v90
	v_fma_f32 v51, v54, v32, -v95
	v_dual_add_f32 v46, v99, v44 :: v_dual_sub_f32 v89, v85, v50
	v_dual_add_f32 v54, v87, v45 :: v_dual_add_f32 v95, v58, v52
	v_dual_sub_f32 v64, v87, v45 :: v_dual_sub_f32 v67, v57, v56
	v_dual_sub_f32 v90, v84, v74 :: v_dual_sub_f32 v97, v82, v81
	v_dual_sub_f32 v94, v83, v73 :: v_dual_add_f32 v61, v61, v88
	v_sub_f32_e32 v96, v58, v52
	v_dual_add_f32 v60, v60, v87 :: v_dual_mul_f32 v101, 0xbf7e222b, v62
	v_dual_mul_f32 v87, 0xbeedf032, v63 :: v_dual_mul_f32 v88, 0xbeedf032, v62
	s_delay_alu instid0(VALU_DEP_4)
	v_add_f32_e32 v61, v61, v84
	v_dual_add_f32 v66, v85, v50 :: v_dual_add_f32 v91, v59, v51
	v_dual_add_f32 v86, v84, v74 :: v_dual_sub_f32 v93, v59, v51
	v_dual_add_f32 v68, v57, v56 :: v_dual_mul_f32 v99, 0xbf52af12, v62
	v_dual_mul_f32 v98, 0xbf52af12, v63 :: v_dual_mul_f32 v107, 0xbf52af12, v64
	v_dual_mul_f32 v100, 0xbf7e222b, v63 :: v_dual_mul_f32 v117, 0xbf7e222b, v89
	v_dual_mul_f32 v102, 0xbf6f5d39, v63 :: v_dual_mul_f32 v103, 0xbf6f5d39, v62
	v_dual_mul_f32 v104, 0xbf29c268, v63 :: v_dual_mul_f32 v105, 0xbf29c268, v62
	v_dual_mul_f32 v63, 0xbe750f2a, v63 :: v_dual_mul_f32 v62, 0xbe750f2a, v62
	v_dual_mul_f32 v106, 0xbf52af12, v65 :: v_dual_mul_f32 v141, 0xbf52af12, v96
	v_dual_mul_f32 v108, 0xbf6f5d39, v65 :: v_dual_mul_f32 v109, 0xbf6f5d39, v64
	v_dual_mul_f32 v110, 0xbe750f2a, v65 :: v_dual_mul_f32 v111, 0xbe750f2a, v64
	v_dual_mul_f32 v112, 0x3f29c268, v65 :: v_dual_mul_f32 v113, 0x3f29c268, v64
	v_dual_mul_f32 v114, 0x3f7e222b, v65 :: v_dual_mul_f32 v115, 0x3f7e222b, v64
	v_dual_mul_f32 v65, 0x3eedf032, v65 :: v_dual_mul_f32 v64, 0x3eedf032, v64
	v_dual_mul_f32 v138, 0x3f7e222b, v97 :: v_dual_mul_f32 v139, 0x3f7e222b, v96
	v_dual_add_f32 v60, v60, v85 :: v_dual_fmamk_f32 v85, v47, 0x3f62ad3f, v88
	v_fma_f32 v84, 0x3f62ad3f, v46, -v87
	v_dual_add_f32 v92, v83, v73 :: v_dual_sub_f32 v69, v70, v71
	v_dual_mul_f32 v116, 0xbf7e222b, v90 :: v_dual_mul_f32 v133, 0xbf7e222b, v93
	v_dual_mul_f32 v126, 0xbf6f5d39, v94 :: v_dual_mul_f32 v127, 0xbf6f5d39, v93
	v_dual_mul_f32 v130, 0x3eedf032, v94 :: v_dual_mul_f32 v131, 0x3eedf032, v93
	v_dual_mul_f32 v132, 0xbf7e222b, v94 :: v_dual_add_f32 v85, v49, v85
	v_dual_mul_f32 v136, 0xbf29c268, v97 :: v_dual_mul_f32 v137, 0xbf29c268, v96
	v_dual_mul_f32 v142, 0x3e750f2a, v97 :: v_dual_mul_f32 v143, 0x3e750f2a, v96
	;; [unrolled: 1-line block ×3, first 2 shown]
	v_mul_f32_e32 v96, 0xbf6f5d39, v96
	v_dual_fmac_f32 v87, 0x3f62ad3f, v46 :: v_dual_fmamk_f32 v166, v55, 0x3f62ad3f, v64
	v_mul_f32_e32 v140, 0xbf52af12, v97
	v_mul_f32_e32 v97, 0xbf6f5d39, v97
	v_fma_f32 v88, 0x3f62ad3f, v47, -v88
	v_fma_f32 v147, 0x3f116cb1, v46, -v98
	v_fmamk_f32 v148, v47, 0x3f116cb1, v99
	v_fma_f32 v99, 0x3f116cb1, v47, -v99
	v_fma_f32 v149, 0x3df6dbef, v46, -v100
	v_fmac_f32_e32 v98, 0x3f116cb1, v46
	v_fmamk_f32 v150, v47, 0x3df6dbef, v101
	v_dual_fmac_f32 v100, 0x3df6dbef, v46 :: v_dual_fmamk_f32 v191, v53, 0x3df6dbef, v139
	v_fma_f32 v101, 0x3df6dbef, v47, -v101
	v_fma_f32 v151, 0xbeb58ec6, v46, -v102
	v_dual_fmamk_f32 v152, v47, 0xbeb58ec6, v103 :: v_dual_fmamk_f32 v195, v53, 0xbeb58ec6, v96
	v_fmac_f32_e32 v102, 0xbeb58ec6, v46
	v_fma_f32 v103, 0xbeb58ec6, v47, -v103
	v_fma_f32 v153, 0xbf3f9e67, v46, -v104
	v_dual_fmamk_f32 v154, v47, 0xbf3f9e67, v105 :: v_dual_add_f32 v151, v48, v151
	v_fmac_f32_e32 v104, 0xbf3f9e67, v46
	v_fma_f32 v105, 0xbf3f9e67, v47, -v105
	v_fma_f32 v155, 0xbf788fa5, v46, -v63
	v_dual_fmamk_f32 v156, v47, 0xbf788fa5, v62 :: v_dual_fmac_f32 v63, 0xbf788fa5, v46
	v_fma_f32 v46, 0xbf788fa5, v47, -v62
	v_fma_f32 v47, 0x3f116cb1, v54, -v106
	v_dual_fmamk_f32 v62, v55, 0x3f116cb1, v107 :: v_dual_add_f32 v103, v49, v103
	v_dual_fmamk_f32 v162, v55, 0xbf3f9e67, v113 :: v_dual_add_f32 v59, v60, v59
	v_fma_f32 v139, 0x3df6dbef, v53, -v139
	v_add_f32_e32 v84, v48, v84
	v_add_f32_e32 v60, v61, v83
	v_dual_mul_f32 v120, 0x3f6f5d39, v90 :: v_dual_mul_f32 v121, 0x3f6f5d39, v89
	v_dual_mul_f32 v128, 0x3f29c268, v94 :: v_dual_mul_f32 v129, 0x3f29c268, v93
	v_dual_fmac_f32 v106, 0x3f116cb1, v54 :: v_dual_add_f32 v153, v48, v153
	v_fma_f32 v107, 0x3f116cb1, v55, -v107
	v_fma_f32 v157, 0xbeb58ec6, v54, -v108
	v_dual_fmamk_f32 v158, v55, 0xbeb58ec6, v109 :: v_dual_add_f32 v105, v49, v105
	v_fmac_f32_e32 v108, 0xbeb58ec6, v54
	v_fma_f32 v109, 0xbeb58ec6, v55, -v109
	v_fma_f32 v159, 0xbf788fa5, v54, -v110
	v_dual_fmamk_f32 v160, v55, 0xbf788fa5, v111 :: v_dual_add_f32 v155, v48, v155
	v_dual_fmac_f32 v110, 0xbf788fa5, v54 :: v_dual_fmamk_f32 v193, v53, 0xbf788fa5, v143
	v_fma_f32 v111, 0xbf788fa5, v55, -v111
	v_fma_f32 v161, 0xbf3f9e67, v54, -v112
	v_dual_fmac_f32 v112, 0xbf3f9e67, v54 :: v_dual_add_f32 v61, v49, v156
	v_fma_f32 v113, 0xbf3f9e67, v55, -v113
	v_fma_f32 v163, 0x3df6dbef, v54, -v114
	v_fmamk_f32 v164, v55, 0x3df6dbef, v115
	v_dual_fmac_f32 v114, 0x3df6dbef, v54 :: v_dual_add_f32 v47, v47, v84
	v_fma_f32 v115, 0x3df6dbef, v55, -v115
	v_fma_f32 v165, 0x3f62ad3f, v54, -v65
	v_fmac_f32_e32 v65, 0x3f62ad3f, v54
	v_fma_f32 v54, 0x3f62ad3f, v55, -v64
	v_fma_f32 v55, 0x3df6dbef, v66, -v116
	v_fmamk_f32 v64, v86, 0x3df6dbef, v117
	v_fma_f32 v179, 0x3f62ad3f, v91, -v130
	v_fmac_f32_e32 v130, 0x3f62ad3f, v91
	v_dual_add_f32 v87, v48, v87 :: v_dual_add_f32 v88, v49, v88
	v_add_f32_e32 v99, v49, v99
	v_add_f32_e32 v148, v49, v148
	;; [unrolled: 1-line block ×8, first 2 shown]
	v_dual_add_f32 v58, v60, v82 :: v_dual_add_f32 v59, v62, v85
	v_dual_mul_f32 v118, 0xbe750f2a, v90 :: v_dual_mul_f32 v119, 0xbe750f2a, v89
	v_dual_mul_f32 v122, 0x3eedf032, v90 :: v_dual_mul_f32 v123, 0x3eedf032, v89
	;; [unrolled: 1-line block ×4, first 2 shown]
	v_fmamk_f32 v170, v86, 0xbeb58ec6, v121
	v_dual_fmamk_f32 v178, v92, 0xbf3f9e67, v129 :: v_dual_add_f32 v47, v55, v47
	v_dual_fmamk_f32 v192, v53, 0x3f116cb1, v141 :: v_dual_add_f32 v55, v64, v59
	v_dual_add_f32 v149, v48, v149 :: v_dual_add_f32 v60, v106, v87
	v_add_f32_e32 v87, v160, v150
	v_fmamk_f32 v182, v92, 0x3df6dbef, v133
	v_fma_f32 v133, 0x3df6dbef, v92, -v133
	v_add_f32_e32 v98, v48, v98
	v_add_f32_e32 v46, v54, v46
	;; [unrolled: 1-line block ×3, first 2 shown]
	v_dual_mul_f32 v134, 0x3e750f2a, v94 :: v_dual_mul_f32 v135, 0x3e750f2a, v93
	v_dual_mul_f32 v146, 0xbe750f2a, v69 :: v_dual_add_f32 v147, v48, v147
	v_fmac_f32_e32 v116, 0x3df6dbef, v66
	v_fma_f32 v117, 0x3df6dbef, v86, -v117
	v_fma_f32 v167, 0xbf788fa5, v66, -v118
	v_dual_fmac_f32 v118, 0xbf788fa5, v66 :: v_dual_add_f32 v85, v159, v149
	v_fma_f32 v169, 0xbeb58ec6, v66, -v120
	v_fmac_f32_e32 v120, 0xbeb58ec6, v66
	v_fma_f32 v121, 0xbeb58ec6, v86, -v121
	v_fma_f32 v171, 0x3f62ad3f, v66, -v122
	v_fmac_f32_e32 v122, 0x3f62ad3f, v66
	v_fma_f32 v173, 0x3f116cb1, v66, -v124
	v_fmac_f32_e32 v124, 0x3f116cb1, v66
	v_fma_f32 v175, 0xbf3f9e67, v66, -v90
	v_dual_fmamk_f32 v176, v86, 0xbf3f9e67, v89 :: v_dual_add_f32 v49, v49, v57
	v_dual_fmac_f32 v90, 0xbf3f9e67, v66 :: v_dual_add_f32 v61, v166, v61
	v_fma_f32 v66, 0xbf3f9e67, v86, -v89
	v_fmamk_f32 v89, v92, 0xbeb58ec6, v127
	v_fma_f32 v188, 0xbf788fa5, v95, -v142
	v_fmac_f32_e32 v142, 0xbf788fa5, v95
	v_fma_f32 v190, 0xbeb58ec6, v95, -v97
	v_fmac_f32_e32 v97, 0xbeb58ec6, v95
	v_dual_fmamk_f32 v168, v86, 0xbf788fa5, v119 :: v_dual_add_f32 v83, v108, v98
	v_add_f32_e32 v62, v107, v88
	v_add_f32_e32 v98, v111, v101
	;; [unrolled: 1-line block ×4, first 2 shown]
	v_dual_mul_f32 v94, 0x3f52af12, v94 :: v_dual_mul_f32 v93, 0x3f52af12, v93
	v_fma_f32 v119, 0xbf788fa5, v86, -v119
	s_delay_alu instid0(VALU_DEP_3)
	v_dual_fmamk_f32 v172, v86, 0x3f62ad3f, v123 :: v_dual_add_f32 v101, v112, v102
	v_fma_f32 v123, 0x3f62ad3f, v86, -v123
	v_dual_fmamk_f32 v174, v86, 0x3f116cb1, v125 :: v_dual_add_f32 v105, v115, v105
	v_fma_f32 v125, 0x3f116cb1, v86, -v125
	v_fma_f32 v86, 0xbeb58ec6, v91, -v126
	v_fmamk_f32 v180, v92, 0x3f62ad3f, v131
	v_fma_f32 v131, 0x3f62ad3f, v92, -v131
	v_fma_f32 v181, 0x3df6dbef, v91, -v132
	v_fmac_f32_e32 v132, 0x3df6dbef, v91
	v_fma_f32 v189, 0x3f62ad3f, v95, -v144
	v_add_f32_e32 v58, v117, v62
	v_add_f32_e32 v62, v118, v83
	;; [unrolled: 1-line block ×3, first 2 shown]
	v_fmac_f32_e32 v144, 0x3f62ad3f, v95
	v_dual_add_f32 v102, v113, v103 :: v_dual_add_f32 v103, v163, v153
	v_fmamk_f32 v184, v92, 0xbf788fa5, v135
	v_fma_f32 v135, 0xbf788fa5, v92, -v135
	v_dual_add_f32 v100, v48, v100 :: v_dual_add_f32 v83, v121, v98
	v_fmac_f32_e32 v126, 0xbeb58ec6, v91
	v_fma_f32 v127, 0xbeb58ec6, v92, -v127
	v_fma_f32 v177, 0xbf3f9e67, v91, -v128
	;; [unrolled: 1-line block ×5, first 2 shown]
	v_fmac_f32_e32 v94, 0x3f116cb1, v91
	v_fma_f32 v187, 0x3f116cb1, v95, -v140
	v_fmac_f32_e32 v140, 0x3f116cb1, v95
	v_fma_f32 v141, 0x3f116cb1, v53, -v141
	v_dual_fmamk_f32 v194, v53, 0x3f62ad3f, v145 :: v_dual_add_f32 v47, v86, v47
	v_add_f32_e32 v84, v109, v99
	v_fmac_f32_e32 v128, 0xbf3f9e67, v91
	v_add_f32_e32 v88, v110, v100
	v_add_f32_e32 v100, v162, v152
	v_fmac_f32_e32 v134, 0xbf788fa5, v91
	v_fma_f32 v91, 0x3f116cb1, v92, -v93
	v_add_f32_e32 v106, v164, v154
	v_fmamk_f32 v186, v92, 0x3f116cb1, v93
	v_fma_f32 v92, 0xbf3f9e67, v95, -v136
	v_dual_fmac_f32 v136, 0xbf3f9e67, v95 :: v_dual_add_f32 v61, v176, v61
	v_fma_f32 v93, 0x3df6dbef, v95, -v138
	v_dual_fmac_f32 v138, 0x3df6dbef, v95 :: v_dual_add_f32 v49, v49, v56
	v_fmamk_f32 v95, v53, 0xbf3f9e67, v137
	v_fma_f32 v137, 0xbf3f9e67, v53, -v137
	v_add_f32_e32 v104, v48, v104
	v_add_f32_e32 v46, v66, v46
	;; [unrolled: 1-line block ×6, first 2 shown]
	v_fma_f32 v143, 0xbf788fa5, v53, -v143
	v_fma_f32 v145, 0x3f62ad3f, v53, -v145
	v_dual_add_f32 v48, v65, v48 :: v_dual_add_f32 v65, v170, v87
	v_add_f32_e32 v87, v122, v101
	v_add_f32_e32 v101, v125, v105
	s_delay_alu instid0(VALU_DEP_3) | instskip(SKIP_3) | instid1(VALU_DEP_4)
	v_dual_add_f32 v55, v89, v55 :: v_dual_add_f32 v48, v90, v48
	v_add_f32_e32 v56, v126, v57
	v_dual_add_f32 v46, v91, v46 :: v_dual_add_f32 v47, v92, v47
	v_add_f32_e32 v70, v70, v71
	v_add_f32_e32 v94, v94, v48
	v_dual_add_f32 v48, v49, v52 :: v_dual_add_f32 v49, v54, v81
	v_add_f32_e32 v59, v167, v63
	v_add_f32_e32 v52, v95, v55
	;; [unrolled: 1-line block ×3, first 2 shown]
	s_delay_alu instid0(VALU_DEP_4) | instskip(SKIP_3) | instid1(VALU_DEP_4)
	v_add_f32_e32 v48, v48, v51
	v_mul_f32_e32 v51, 0xbe750f2a, v67
	v_add_f32_e32 v85, v172, v100
	v_dual_add_f32 v49, v49, v73 :: v_dual_add_f32 v54, v136, v56
	v_dual_add_f32 v48, v48, v50 :: v_dual_add_f32 v107, v165, v155
	s_delay_alu instid0(VALU_DEP_3) | instskip(NEXT) | instid1(VALU_DEP_3)
	v_add_f32_e32 v83, v182, v85
	v_dual_add_f32 v82, v158, v148 :: v_dual_add_f32 v49, v49, v74
	s_delay_alu instid0(VALU_DEP_3) | instskip(SKIP_2) | instid1(VALU_DEP_3)
	v_add_f32_e32 v45, v48, v45
	v_add_f32_e32 v63, v119, v84
	v_dual_add_f32 v84, v171, v99 :: v_dual_add_f32 v99, v174, v106
	v_dual_add_f32 v61, v186, v61 :: v_dual_add_f32 v48, v45, v44
	v_fma_f32 v44, 0xbeb58ec6, v53, -v96
	v_fma_f32 v45, 0xbf788fa5, v68, -v146
	v_mul_f32_e32 v53, 0x3eedf032, v67
	v_dual_add_f32 v57, v127, v58 :: v_dual_add_f32 v58, v177, v59
	s_delay_alu instid0(VALU_DEP_4) | instskip(NEXT) | instid1(VALU_DEP_4)
	v_add_f32_e32 v46, v44, v46
	v_add_f32_e32 v50, v45, v47
	s_delay_alu instid0(VALU_DEP_3) | instskip(SKIP_3) | instid1(VALU_DEP_4)
	v_dual_fmamk_f32 v44, v70, 0xbf788fa5, v51 :: v_dual_add_f32 v55, v137, v57
	v_fma_f32 v45, 0xbf788fa5, v70, -v51
	v_dual_add_f32 v60, v168, v82 :: v_dual_mul_f32 v47, 0x3eedf032, v69
	v_fmac_f32_e32 v146, 0xbf788fa5, v68
	v_add_f32_e32 v51, v44, v52
	s_delay_alu instid0(VALU_DEP_4) | instskip(NEXT) | instid1(VALU_DEP_4)
	v_add_f32_e32 v45, v45, v55
	v_dual_add_f32 v59, v178, v60 :: v_dual_add_f32 v60, v128, v62
	v_add_f32_e32 v56, v93, v58
	v_fma_f32 v52, 0x3f62ad3f, v68, -v47
	s_delay_alu instid0(VALU_DEP_3) | instskip(NEXT) | instid1(VALU_DEP_4)
	v_dual_add_f32 v44, v146, v54 :: v_dual_add_f32 v57, v191, v59
	v_add_f32_e32 v58, v138, v60
	v_fmamk_f32 v54, v70, 0x3f62ad3f, v53
	v_fmac_f32_e32 v47, 0x3f62ad3f, v68
	v_dual_add_f32 v104, v114, v104 :: v_dual_add_f32 v71, v195, v61
	v_dual_add_f32 v49, v49, v79 :: v_dual_add_f32 v82, v120, v88
	s_delay_alu instid0(VALU_DEP_3) | instskip(SKIP_2) | instid1(VALU_DEP_4)
	v_dual_add_f32 v61, v54, v57 :: v_dual_add_f32 v54, v47, v58
	v_dual_mul_f32 v47, 0x3f52af12, v69 :: v_dual_add_f32 v98, v173, v103
	v_dual_add_f32 v62, v129, v63 :: v_dual_add_f32 v63, v179, v64
	v_dual_add_f32 v64, v180, v65 :: v_dual_add_f32 v65, v130, v82
	v_add_f32_e32 v82, v181, v84
	s_delay_alu instid0(VALU_DEP_4) | instskip(NEXT) | instid1(VALU_DEP_4)
	v_add_f32_e32 v86, v183, v98
	v_add_f32_e32 v59, v139, v62
	s_delay_alu instid0(VALU_DEP_4)
	v_dual_add_f32 v62, v187, v63 :: v_dual_add_f32 v63, v192, v64
	v_dual_add_f32 v64, v140, v65 :: v_dual_add_f32 v65, v141, v66
	v_add_f32_e32 v66, v188, v82
	v_add_f32_e32 v82, v189, v86
	v_mul_f32_e32 v86, 0xbf29c268, v69
	v_add_f32_e32 v60, v52, v56
	v_fma_f32 v52, 0x3f62ad3f, v70, -v53
	v_add_f32_e32 v88, v123, v102
	v_mul_f32_e32 v56, 0xbf29c268, v67
	v_fma_f32 v53, 0xbf3f9e67, v68, -v86
	v_dual_add_f32 v100, v124, v104 :: v_dual_mul_f32 v57, 0x3f52af12, v67
	v_add_f32_e32 v55, v52, v59
	v_add_f32_e32 v85, v133, v88
	s_delay_alu instid0(VALU_DEP_4)
	v_add_f32_e32 v62, v53, v62
	v_fmamk_f32 v52, v70, 0xbf3f9e67, v56
	v_fmac_f32_e32 v86, 0xbf3f9e67, v68
	v_fma_f32 v53, 0xbf3f9e67, v70, -v56
	v_fma_f32 v56, 0x3f116cb1, v68, -v47
	v_add_f32_e32 v102, v175, v107
	v_dual_add_f32 v88, v134, v100 :: v_dual_add_f32 v73, v193, v83
	s_delay_alu instid0(VALU_DEP_4)
	v_add_f32_e32 v53, v53, v65
	v_dual_add_f32 v74, v143, v85 :: v_dual_add_f32 v63, v52, v63
	v_add_f32_e32 v52, v86, v64
	v_add_f32_e32 v64, v56, v66
	v_fmamk_f32 v56, v70, 0x3f116cb1, v57
	v_mul_f32_e32 v86, 0xbf6f5d39, v69
	v_fma_f32 v57, 0x3f116cb1, v70, -v57
	v_dual_add_f32 v90, v185, v102 :: v_dual_add_f32 v79, v144, v88
	s_delay_alu instid0(VALU_DEP_4) | instskip(NEXT) | instid1(VALU_DEP_4)
	v_add_f32_e32 v65, v56, v73
	v_fma_f32 v56, 0xbeb58ec6, v68, -v86
	s_delay_alu instid0(VALU_DEP_4)
	v_dual_add_f32 v59, v57, v74 :: v_dual_fmac_f32 v86, 0xbeb58ec6, v68
	v_mul_f32_e32 v73, 0x3f7e222b, v69
	v_mul_f32_e32 v57, 0x3f7e222b, v67
	v_add_f32_e32 v85, v190, v90
	v_add_f32_e32 v66, v56, v82
	;; [unrolled: 1-line block ×3, first 2 shown]
	v_fma_f32 v69, 0x3df6dbef, v68, -v73
	v_fmamk_f32 v74, v70, 0x3df6dbef, v57
	v_fma_f32 v79, 0x3df6dbef, v70, -v57
	v_add_f32_e32 v84, v132, v87
	v_add_f32_e32 v87, v184, v99
	v_fmac_f32_e32 v47, 0x3f116cb1, v68
	v_dual_fmac_f32 v73, 0x3df6dbef, v68 :: v_dual_add_f32 v68, v69, v85
	v_add_f32_e32 v69, v74, v71
	v_add_f32_e32 v71, v79, v46
	;; [unrolled: 1-line block ×4, first 2 shown]
	v_mul_f32_e32 v87, 0xbf6f5d39, v67
	v_add_f32_e32 v89, v135, v101
	s_delay_alu instid0(VALU_DEP_4) | instskip(NEXT) | instid1(VALU_DEP_3)
	v_dual_add_f32 v49, v49, v80 :: v_dual_add_f32 v58, v47, v81
	v_dual_add_f32 v80, v97, v94 :: v_dual_fmamk_f32 v47, v70, 0xbeb58ec6, v87
	s_delay_alu instid0(VALU_DEP_1) | instskip(SKIP_1) | instid1(VALU_DEP_3)
	v_dual_add_f32 v84, v145, v89 :: v_dual_add_f32 v67, v47, v83
	v_fma_f32 v47, 0xbeb58ec6, v70, -v87
	v_add_f32_e32 v70, v73, v80
	s_delay_alu instid0(VALU_DEP_2)
	v_add_f32_e32 v57, v47, v84
	s_and_saveexec_b32 s0, vcc_lo
	s_cbranch_execz .LBB0_11
; %bb.10:
	v_add_nc_u32_e32 v46, 0x800, v75
	v_add_nc_u32_e32 v47, 0x1000, v75
	;; [unrolled: 1-line block ×5, first 2 shown]
	ds_store_2addr_b64 v75, v[48:49], v[50:51] offset1:143
	ds_store_2addr_b64 v46, v[60:61], v[62:63] offset0:30 offset1:173
	ds_store_2addr_b64 v47, v[64:65], v[66:67] offset0:60 offset1:203
	;; [unrolled: 1-line block ×5, first 2 shown]
	ds_store_b64 v75, v[44:45] offset:13728
.LBB0_11:
	s_or_b32 exec_lo, exec_lo, s0
	s_waitcnt lgkmcnt(0)
	s_barrier
	buffer_gl0_inv
	s_and_saveexec_b32 s1, vcc_lo
	s_cbranch_execz .LBB0_13
; %bb.12:
	v_add_co_u32 v83, s0, s14, v75
	s_delay_alu instid0(VALU_DEP_1) | instskip(SKIP_1) | instid1(VALU_DEP_3)
	v_add_co_ci_u32_e64 v84, null, s15, 0, s0
	v_add_nc_u32_e32 v125, 0x400, v75
	v_add_co_u32 v46, s0, 0x3000, v83
	s_delay_alu instid0(VALU_DEP_1) | instskip(SKIP_1) | instid1(VALU_DEP_1)
	v_add_co_ci_u32_e64 v47, s0, 0, v84, s0
	v_add_co_u32 v73, s0, 0x3a18, v83
	v_add_co_ci_u32_e64 v74, s0, 0, v84, s0
	global_load_b64 v[46:47], v[46:47], off offset:2584
	v_add_co_u32 v79, s0, 0x4000, v83
	global_load_b64 v[103:104], v[73:74], off offset:1144
	v_add_co_ci_u32_e64 v80, s0, 0, v84, s0
	v_add_co_u32 v81, s0, 0x5000, v83
	s_delay_alu instid0(VALU_DEP_1)
	v_add_co_ci_u32_e64 v82, s0, 0, v84, s0
	s_clause 0x4
	global_load_b64 v[105:106], v[73:74], off offset:2288
	global_load_b64 v[73:74], v[73:74], off offset:3432
	;; [unrolled: 1-line block ×5, first 2 shown]
	v_add_co_u32 v79, s0, 0x6000, v83
	s_delay_alu instid0(VALU_DEP_1)
	v_add_co_ci_u32_e64 v80, s0, 0, v84, s0
	s_clause 0x5
	global_load_b64 v[113:114], v[81:82], off offset:2400
	global_load_b64 v[115:116], v[81:82], off offset:3544
	;; [unrolled: 1-line block ×6, first 2 shown]
	ds_load_b64 v[79:80], v75
	s_waitcnt vmcnt(12) lgkmcnt(0)
	v_mul_f32_e32 v81, v80, v47
	v_mul_f32_e32 v82, v79, v47
	s_delay_alu instid0(VALU_DEP_2) | instskip(NEXT) | instid1(VALU_DEP_2)
	v_fma_f32 v81, v79, v46, -v81
	v_fmac_f32_e32 v82, v80, v46
	ds_store_b64 v75, v[81:82]
	ds_load_2addr_b64 v[79:82], v125 offset0:15 offset1:158
	v_add_nc_u32_e32 v127, 0x1400, v75
	v_add_nc_u32_e32 v126, 0xc00, v75
	;; [unrolled: 1-line block ×3, first 2 shown]
	s_waitcnt vmcnt(11) lgkmcnt(0)
	v_dual_mul_f32 v46, v80, v104 :: v_dual_add_nc_u32 v129, 0x2800, v75
	ds_load_2addr_b64 v[87:90], v127 offset0:75 offset1:218
	v_dual_mul_f32 v47, v79, v104 :: v_dual_add_nc_u32 v130, 0x3000, v75
	ds_load_2addr_b64 v[83:86], v126 offset0:45 offset1:188
	s_waitcnt vmcnt(10)
	v_mul_f32_e32 v131, v82, v106
	ds_load_2addr_b64 v[91:94], v128 offset0:105 offset1:248
	v_mul_f32_e32 v104, v81, v106
	v_fma_f32 v46, v79, v103, -v46
	v_fmac_f32_e32 v47, v80, v103
	v_fma_f32 v103, v81, v105, -v131
	s_delay_alu instid0(VALU_DEP_4)
	v_fmac_f32_e32 v104, v82, v105
	s_waitcnt vmcnt(6) lgkmcnt(2)
	v_mul_f32_e32 v135, v90, v112
	ds_load_2addr_b64 v[95:98], v129 offset0:7 offset1:150
	ds_load_2addr_b64 v[99:102], v130 offset0:37 offset1:180
	v_mul_f32_e32 v134, v88, v110
	s_waitcnt lgkmcnt(3)
	v_mul_f32_e32 v132, v84, v74
	s_waitcnt vmcnt(4) lgkmcnt(2)
	v_dual_mul_f32 v106, v83, v74 :: v_dual_mul_f32 v137, v94, v116
	v_mul_f32_e32 v133, v86, v108
	v_mul_f32_e32 v74, v85, v108
	;; [unrolled: 1-line block ×7, first 2 shown]
	v_fma_f32 v105, v83, v73, -v132
	v_fmac_f32_e32 v106, v84, v73
	v_fma_f32 v73, v85, v107, -v133
	v_fmac_f32_e32 v74, v86, v107
	v_fmac_f32_e32 v110, v90, v111
	;; [unrolled: 1-line block ×4, first 2 shown]
	s_waitcnt vmcnt(0) lgkmcnt(0)
	v_dual_mul_f32 v138, v96, v118 :: v_dual_mul_f32 v141, v102, v124
	v_dual_mul_f32 v116, v95, v118 :: v_dual_mul_f32 v139, v98, v120
	v_mul_f32_e32 v118, v97, v120
	v_mul_f32_e32 v140, v100, v122
	;; [unrolled: 1-line block ×4, first 2 shown]
	v_fma_f32 v107, v87, v109, -v134
	v_fmac_f32_e32 v108, v88, v109
	v_fma_f32 v109, v89, v111, -v135
	v_fma_f32 v111, v91, v113, -v136
	;; [unrolled: 1-line block ×4, first 2 shown]
	v_fmac_f32_e32 v116, v96, v117
	v_fma_f32 v117, v97, v119, -v139
	v_fmac_f32_e32 v118, v98, v119
	v_fma_f32 v119, v99, v121, -v140
	;; [unrolled: 2-line block ×3, first 2 shown]
	v_fmac_f32_e32 v122, v102, v123
	ds_store_2addr_b64 v125, v[46:47], v[103:104] offset0:15 offset1:158
	ds_store_2addr_b64 v126, v[105:106], v[73:74] offset0:45 offset1:188
	;; [unrolled: 1-line block ×6, first 2 shown]
.LBB0_13:
	s_or_b32 exec_lo, exec_lo, s1
	s_waitcnt lgkmcnt(0)
	s_barrier
	buffer_gl0_inv
	s_and_saveexec_b32 s0, vcc_lo
	s_cbranch_execz .LBB0_15
; %bb.14:
	v_add_nc_u32_e32 v44, 0x800, v75
	v_add_nc_u32_e32 v45, 0x1000, v75
	;; [unrolled: 1-line block ×5, first 2 shown]
	ds_load_2addr_b64 v[48:51], v75 offset1:143
	ds_load_2addr_b64 v[60:63], v44 offset0:30 offset1:173
	ds_load_2addr_b64 v[64:67], v45 offset0:60 offset1:203
	;; [unrolled: 1-line block ×5, first 2 shown]
	ds_load_b64 v[44:45], v75 offset:13728
.LBB0_15:
	s_or_b32 exec_lo, exec_lo, s0
	s_waitcnt lgkmcnt(0)
	v_dual_sub_f32 v106, v51, v45 :: v_dual_add_f32 v79, v44, v50
	v_dual_add_f32 v112, v45, v51 :: v_dual_sub_f32 v81, v50, v44
	s_delay_alu instid0(VALU_DEP_2) | instskip(SKIP_1) | instid1(VALU_DEP_3)
	v_dual_sub_f32 v108, v61, v55 :: v_dual_mul_f32 v101, 0xbf52af12, v106
	v_dual_mul_f32 v91, 0xbeedf032, v106 :: v_dual_add_f32 v80, v54, v60
	v_dual_mul_f32 v95, 0x3f62ad3f, v112 :: v_dual_add_f32 v114, v55, v61
	v_dual_mul_f32 v103, 0x3f116cb1, v112 :: v_dual_sub_f32 v82, v60, v54
	s_delay_alu instid0(VALU_DEP_3) | instskip(NEXT) | instid1(VALU_DEP_3)
	v_fma_f32 v46, 0x3f62ad3f, v79, -v91
	v_fmamk_f32 v47, v81, 0xbeedf032, v95
	v_fma_f32 v73, 0x3f116cb1, v79, -v101
	s_delay_alu instid0(VALU_DEP_4)
	v_fmamk_f32 v74, v81, 0xbf52af12, v103
	v_dual_mul_f32 v94, 0x3f116cb1, v114 :: v_dual_sub_f32 v113, v63, v53
	v_add_f32_e32 v46, v48, v46
	v_dual_mul_f32 v92, 0xbf52af12, v108 :: v_dual_add_f32 v47, v49, v47
	v_dual_mul_f32 v107, 0xbeb58ec6, v114 :: v_dual_sub_f32 v84, v62, v52
	v_add_f32_e32 v73, v48, v73
	s_delay_alu instid0(VALU_DEP_3) | instskip(SKIP_3) | instid1(VALU_DEP_4)
	v_fma_f32 v83, 0x3f116cb1, v80, -v92
	v_dual_add_f32 v74, v49, v74 :: v_dual_fmamk_f32 v85, v82, 0xbf52af12, v94
	v_mul_f32_e32 v105, 0xbf6f5d39, v108
	v_dual_fmamk_f32 v87, v82, 0xbf6f5d39, v107 :: v_dual_add_f32 v124, v59, v65
	v_dual_add_f32 v46, v83, v46 :: v_dual_mul_f32 v93, 0xbf7e222b, v113
	v_add_f32_e32 v121, v53, v63
	v_add_f32_e32 v83, v52, v62
	s_delay_alu instid0(VALU_DEP_4) | instskip(SKIP_1) | instid1(VALU_DEP_4)
	v_dual_add_f32 v74, v87, v74 :: v_dual_sub_f32 v117, v65, v59
	v_mul_f32_e32 v98, 0xbeb58ec6, v124
	v_mul_f32_e32 v96, 0x3df6dbef, v121
	s_delay_alu instid0(VALU_DEP_4) | instskip(SKIP_3) | instid1(VALU_DEP_4)
	v_fma_f32 v88, 0x3df6dbef, v83, -v93
	v_fma_f32 v86, 0xbeb58ec6, v80, -v105
	v_mul_f32_e32 v97, 0xbf6f5d39, v117
	v_dual_sub_f32 v118, v67, v57 :: v_dual_mul_f32 v115, 0xbf3f9e67, v124
	v_dual_add_f32 v46, v88, v46 :: v_dual_add_f32 v47, v85, v47
	v_dual_mul_f32 v110, 0xbf788fa5, v121 :: v_dual_add_f32 v85, v58, v64
	v_dual_add_f32 v73, v86, v73 :: v_dual_sub_f32 v86, v64, v58
	v_mul_f32_e32 v111, 0x3f29c268, v117
	v_add_f32_e32 v125, v57, v67
	s_delay_alu instid0(VALU_DEP_4) | instskip(SKIP_2) | instid1(VALU_DEP_4)
	v_fma_f32 v90, 0xbeb58ec6, v85, -v97
	v_mul_f32_e32 v109, 0xbe750f2a, v113
	v_dual_mul_f32 v99, 0xbf29c268, v118 :: v_dual_add_f32 v126, v71, v69
	v_mul_f32_e32 v100, 0xbf3f9e67, v125
	s_delay_alu instid0(VALU_DEP_4)
	v_add_f32_e32 v46, v90, v46
	v_fmamk_f32 v90, v86, 0x3f29c268, v115
	v_fmamk_f32 v89, v84, 0xbe750f2a, v110
	;; [unrolled: 1-line block ×3, first 2 shown]
	v_fma_f32 v88, 0xbf788fa5, v83, -v109
	v_mul_f32_e32 v116, 0x3f7e222b, v118
	s_delay_alu instid0(VALU_DEP_3) | instskip(SKIP_1) | instid1(VALU_DEP_4)
	v_dual_add_f32 v74, v89, v74 :: v_dual_add_f32 v47, v87, v47
	v_fmamk_f32 v87, v86, 0xbf6f5d39, v98
	v_add_f32_e32 v73, v88, v73
	v_fma_f32 v89, 0xbf3f9e67, v85, -v111
	s_delay_alu instid0(VALU_DEP_4) | instskip(NEXT) | instid1(VALU_DEP_4)
	v_add_f32_e32 v74, v90, v74
	v_dual_sub_f32 v90, v68, v70 :: v_dual_add_f32 v47, v87, v47
	v_sub_f32_e32 v123, v69, v71
	v_add_f32_e32 v87, v56, v66
	v_dual_add_f32 v73, v89, v73 :: v_dual_sub_f32 v88, v66, v56
	s_barrier
	s_delay_alu instid0(VALU_DEP_3) | instskip(NEXT) | instid1(VALU_DEP_3)
	v_mul_f32_e32 v120, 0x3eedf032, v123
	v_fma_f32 v102, 0xbf3f9e67, v87, -v99
	buffer_gl0_inv
	v_mul_f32_e32 v122, 0x3f62ad3f, v126
	v_add_f32_e32 v46, v102, v46
	v_mul_f32_e32 v102, 0xbe750f2a, v123
	v_fma_f32 v104, 0x3df6dbef, v87, -v116
	s_delay_alu instid0(VALU_DEP_1) | instskip(SKIP_2) | instid1(VALU_DEP_1)
	v_dual_fmamk_f32 v130, v90, 0x3eedf032, v122 :: v_dual_add_f32 v127, v104, v73
	v_mul_f32_e32 v104, 0xbf788fa5, v126
	v_mul_f32_e32 v119, 0x3df6dbef, v125
	v_fmamk_f32 v73, v88, 0x3f7e222b, v119
	s_delay_alu instid0(VALU_DEP_1) | instskip(NEXT) | instid1(VALU_DEP_1)
	v_dual_fmamk_f32 v89, v88, 0xbf29c268, v100 :: v_dual_add_f32 v128, v73, v74
	v_add_f32_e32 v47, v89, v47
	v_add_f32_e32 v89, v70, v68
	v_fmamk_f32 v74, v90, 0xbe750f2a, v104
	s_delay_alu instid0(VALU_DEP_2) | instskip(SKIP_1) | instid1(VALU_DEP_3)
	v_fma_f32 v73, 0xbf788fa5, v89, -v102
	v_fma_f32 v129, 0x3f62ad3f, v89, -v120
	v_add_f32_e32 v74, v74, v47
	v_add_f32_e32 v47, v130, v128
	s_delay_alu instid0(VALU_DEP_4) | instskip(NEXT) | instid1(VALU_DEP_4)
	v_add_f32_e32 v73, v73, v46
	v_add_f32_e32 v46, v129, v127
	s_and_saveexec_b32 s0, vcc_lo
	s_cbranch_execz .LBB0_17
; %bb.16:
	v_dual_mul_f32 v141, 0xbf788fa5, v112 :: v_dual_mul_f32 v142, 0xbf788fa5, v83
	v_dual_mul_f32 v147, 0xbf3f9e67, v85 :: v_dual_mul_f32 v164, 0xbf3f9e67, v112
	v_mul_f32_e32 v182, 0x3eedf032, v118
	v_mul_f32_e32 v172, 0x3f62ad3f, v125
	;; [unrolled: 1-line block ×4, first 2 shown]
	v_dual_mul_f32 v131, 0x3f62ad3f, v79 :: v_dual_mul_f32 v146, 0x3f62ad3f, v114
	v_mul_f32_e32 v167, 0x3df6dbef, v114
	v_fmamk_f32 v176, v88, 0xbeedf032, v172
	v_fmamk_f32 v127, v81, 0x3e750f2a, v141
	;; [unrolled: 1-line block ×4, first 2 shown]
	v_mul_f32_e32 v132, 0xbeedf032, v81
	v_dual_mul_f32 v149, 0xbf3f9e67, v87 :: v_dual_mul_f32 v150, 0xbf3f9e67, v121
	v_add_f32_e32 v127, v49, v127
	s_delay_alu instid0(VALU_DEP_4)
	v_dual_mul_f32 v153, 0x3f7e222b, v88 :: v_dual_add_f32 v166, v49, v166
	v_mul_f32_e32 v168, 0xbf6f5d39, v118
	v_mul_f32_e32 v185, 0xbf6f5d39, v106
	;; [unrolled: 1-line block ×4, first 2 shown]
	v_fmamk_f32 v169, v82, 0xbf7e222b, v167
	v_fmamk_f32 v128, v82, 0xbeedf032, v146
	v_dual_mul_f32 v133, 0x3f116cb1, v79 :: v_dual_mul_f32 v154, 0x3f116cb1, v124
	v_mul_f32_e32 v134, 0xbf52af12, v81
	v_mul_f32_e32 v157, 0xbe750f2a, v106
	s_delay_alu instid0(VALU_DEP_4)
	v_add_f32_e32 v127, v128, v127
	v_fmamk_f32 v171, v87, 0xbeb58ec6, v168
	v_fmamk_f32 v128, v84, 0x3f29c268, v150
	v_mul_f32_e32 v136, 0xbf52af12, v82
	v_mul_f32_e32 v158, 0xbeb58ec6, v125
	v_fmamk_f32 v129, v79, 0xbf788fa5, v157
	v_dual_mul_f32 v160, 0x3eedf032, v108 :: v_dual_mul_f32 v161, 0x3eedf032, v90
	v_dual_add_f32 v127, v128, v127 :: v_dual_fmamk_f32 v128, v86, 0xbf52af12, v154
	v_mul_f32_e32 v138, 0xbf6f5d39, v82
	s_delay_alu instid0(VALU_DEP_4)
	v_dual_mul_f32 v140, 0xbf7e222b, v84 :: v_dual_add_f32 v129, v48, v129
	v_dual_mul_f32 v151, 0xbf29c268, v88 :: v_dual_mul_f32 v162, 0xbf29c268, v113
	v_dual_mul_f32 v159, 0x3f62ad3f, v89 :: v_dual_fmamk_f32 v130, v80, 0x3f62ad3f, v160
	v_add_f32_e32 v127, v128, v127
	v_fmamk_f32 v128, v88, 0x3f6f5d39, v158
	v_mul_f32_e32 v135, 0x3f116cb1, v80
	v_mul_f32_e32 v148, 0x3f29c268, v86
	;; [unrolled: 1-line block ×4, first 2 shown]
	v_dual_add_f32 v127, v128, v127 :: v_dual_add_f32 v128, v130, v129
	v_fmamk_f32 v188, v79, 0xbeb58ec6, v185
	v_fmamk_f32 v180, v81, 0x3f6f5d39, v177
	v_fmamk_f32 v129, v83, 0xbf3f9e67, v162
	v_fmamk_f32 v193, v81, 0x3f7e222b, v112
	v_mul_f32_e32 v194, 0xbf788fa5, v114
	v_dual_mul_f32 v152, 0x3df6dbef, v87 :: v_dual_mul_f32 v163, 0x3df6dbef, v126
	v_dual_add_f32 v180, v49, v180 :: v_dual_mul_f32 v139, 0x3df6dbef, v83
	v_add_f32_e32 v128, v129, v128
	v_fmamk_f32 v129, v85, 0x3f116cb1, v165
	v_add_f32_e32 v193, v49, v193
	v_dual_mul_f32 v195, 0x3e750f2a, v118 :: v_dual_fmamk_f32 v196, v82, 0x3e750f2a, v194
	v_mul_f32_e32 v155, 0xbf788fa5, v89
	s_delay_alu instid0(VALU_DEP_4) | instskip(SKIP_3) | instid1(VALU_DEP_4)
	v_dual_add_f32 v129, v129, v128 :: v_dual_mul_f32 v184, 0x3f62ad3f, v121
	v_mul_f32_e32 v191, 0xbf7e222b, v117
	v_mul_f32_e32 v175, 0x3f7e222b, v108
	v_add_f32_e32 v51, v51, v49
	v_add_f32_e32 v129, v171, v129
	v_mul_f32_e32 v171, 0xbf29c268, v106
	v_dual_mul_f32 v108, 0xbe750f2a, v108 :: v_dual_add_f32 v101, v133, v101
	s_delay_alu instid0(VALU_DEP_4) | instskip(SKIP_1) | instid1(VALU_DEP_4)
	v_add_f32_e32 v51, v61, v51
	v_add_f32_e32 v61, v131, v91
	v_fmamk_f32 v174, v79, 0xbf3f9e67, v171
	v_fmamk_f32 v130, v90, 0xbf7e222b, v163
	v_mul_f32_e32 v145, 0xbf6f5d39, v86
	v_dual_mul_f32 v137, 0xbeb58ec6, v80 :: v_dual_mul_f32 v144, 0xbeb58ec6, v85
	v_dual_mul_f32 v143, 0xbe750f2a, v84 :: v_dual_mul_f32 v156, 0xbe750f2a, v90
	s_delay_alu instid0(VALU_DEP_4) | instskip(SKIP_4) | instid1(VALU_DEP_4)
	v_dual_add_f32 v128, v130, v127 :: v_dual_add_f32 v127, v169, v166
	v_fmamk_f32 v130, v84, 0x3f52af12, v170
	v_mul_f32_e32 v166, 0xbf788fa5, v124
	v_dual_mul_f32 v197, 0x3f6f5d39, v113 :: v_dual_sub_f32 v96, v96, v140
	v_mul_f32_e32 v121, 0xbeb58ec6, v121
	v_add_f32_e32 v127, v130, v127
	s_delay_alu instid0(VALU_DEP_4) | instskip(SKIP_2) | instid1(VALU_DEP_3)
	v_dual_fmamk_f32 v130, v86, 0xbe750f2a, v166 :: v_dual_sub_f32 v107, v107, v138
	v_dual_mul_f32 v118, 0xbf52af12, v118 :: v_dual_add_f32 v105, v137, v105
	v_mul_f32_e32 v186, 0xbf788fa5, v125
	v_dual_add_f32 v130, v130, v127 :: v_dual_mul_f32 v125, 0x3f116cb1, v125
	v_add_f32_e32 v51, v63, v51
	v_sub_f32_e32 v103, v103, v134
	s_delay_alu instid0(VALU_DEP_3) | instskip(NEXT) | instid1(VALU_DEP_3)
	v_dual_fmac_f32 v141, 0xbe750f2a, v81 :: v_dual_add_f32 v130, v176, v130
	v_dual_mul_f32 v176, 0xbeb58ec6, v126 :: v_dual_add_f32 v51, v65, v51
	s_delay_alu instid0(VALU_DEP_3) | instskip(SKIP_2) | instid1(VALU_DEP_4)
	v_add_f32_e32 v103, v49, v103
	v_fmac_f32_e32 v167, 0x3f7e222b, v82
	v_fmac_f32_e32 v177, 0xbf6f5d39, v81
	v_fmamk_f32 v179, v90, 0x3f6f5d39, v176
	s_delay_alu instid0(VALU_DEP_4) | instskip(SKIP_1) | instid1(VALU_DEP_3)
	v_dual_add_f32 v50, v50, v48 :: v_dual_add_f32 v103, v107, v103
	v_dual_sub_f32 v107, v110, v143 :: v_dual_fmamk_f32 v110, v87, 0x3f116cb1, v118
	v_add_f32_e32 v130, v179, v130
	v_dual_add_f32 v179, v183, v180 :: v_dual_fmamk_f32 v180, v84, 0xbeedf032, v184
	v_mul_f32_e32 v183, 0x3df6dbef, v124
	v_mul_f32_e32 v169, 0x3f7e222b, v123
	;; [unrolled: 1-line block ×3, first 2 shown]
	v_dual_mul_f32 v117, 0x3eedf032, v117 :: v_dual_add_f32 v50, v60, v50
	s_delay_alu instid0(VALU_DEP_4) | instskip(NEXT) | instid1(VALU_DEP_4)
	v_dual_add_f32 v179, v180, v179 :: v_dual_fmamk_f32 v180, v86, 0x3f7e222b, v183
	v_fmamk_f32 v173, v89, 0x3df6dbef, v169
	s_delay_alu instid0(VALU_DEP_3) | instskip(NEXT) | instid1(VALU_DEP_3)
	v_dual_fmamk_f32 v133, v85, 0x3f62ad3f, v117 :: v_dual_add_f32 v60, v48, v61
	v_dual_mul_f32 v124, 0x3f62ad3f, v124 :: v_dual_add_f32 v179, v180, v179
	s_delay_alu instid0(VALU_DEP_3)
	v_add_f32_e32 v127, v173, v129
	v_add_f32_e32 v129, v48, v174
	v_fmamk_f32 v173, v80, 0x3df6dbef, v175
	v_mul_f32_e32 v174, 0xbf52af12, v113
	v_fmamk_f32 v180, v88, 0xbe750f2a, v186
	v_mul_f32_e32 v190, 0x3eedf032, v113
	s_delay_alu instid0(VALU_DEP_4) | instskip(NEXT) | instid1(VALU_DEP_4)
	v_dual_fmamk_f32 v198, v88, 0x3f52af12, v125 :: v_dual_add_f32 v129, v173, v129
	v_fmamk_f32 v173, v83, 0x3f116cb1, v174
	s_delay_alu instid0(VALU_DEP_4) | instskip(SKIP_1) | instid1(VALU_DEP_3)
	v_dual_add_f32 v179, v180, v179 :: v_dual_mul_f32 v180, 0x3f116cb1, v126
	v_dual_mul_f32 v126, 0xbf3f9e67, v126 :: v_dual_add_f32 v61, v135, v92
	v_dual_fmac_f32 v166, 0x3e750f2a, v86 :: v_dual_add_f32 v129, v173, v129
	v_fmamk_f32 v173, v85, 0xbf788fa5, v178
	s_delay_alu instid0(VALU_DEP_4) | instskip(NEXT) | instid1(VALU_DEP_4)
	v_fmamk_f32 v192, v90, 0xbf52af12, v180
	v_dual_fmamk_f32 v134, v90, 0x3f29c268, v126 :: v_dual_add_f32 v101, v48, v101
	s_delay_alu instid0(VALU_DEP_3) | instskip(NEXT) | instid1(VALU_DEP_3)
	v_dual_add_f32 v50, v62, v50 :: v_dual_add_f32 v129, v173, v129
	v_dual_fmamk_f32 v173, v87, 0x3f62ad3f, v182 :: v_dual_add_f32 v114, v192, v179
	s_delay_alu instid0(VALU_DEP_3) | instskip(NEXT) | instid1(VALU_DEP_2)
	v_dual_fmamk_f32 v192, v84, 0xbf6f5d39, v121 :: v_dual_add_f32 v101, v105, v101
	v_dual_add_f32 v50, v64, v50 :: v_dual_add_f32 v129, v173, v129
	v_dual_mul_f32 v173, 0xbf6f5d39, v123 :: v_dual_add_f32 v60, v61, v60
	v_add_f32_e32 v61, v139, v93
	v_dual_add_f32 v51, v67, v51 :: v_dual_fmac_f32 v170, 0xbf52af12, v84
	s_delay_alu instid0(VALU_DEP_3) | instskip(NEXT) | instid1(VALU_DEP_3)
	v_fmamk_f32 v187, v89, 0xbeb58ec6, v173
	v_dual_add_f32 v105, v142, v109 :: v_dual_add_f32 v60, v61, v60
	v_dual_mul_f32 v109, 0xbf29c268, v123 :: v_dual_add_f32 v50, v66, v50
	s_delay_alu instid0(VALU_DEP_3) | instskip(SKIP_4) | instid1(VALU_DEP_3)
	v_add_f32_e32 v129, v187, v129
	v_add_f32_e32 v187, v48, v188
	v_dual_fmamk_f32 v188, v80, 0xbf3f9e67, v189 :: v_dual_add_f32 v51, v69, v51
	v_add_f32_e32 v61, v144, v97
	v_dual_add_f32 v103, v107, v103 :: v_dual_add_f32 v50, v68, v50
	v_dual_add_f32 v187, v188, v187 :: v_dual_fmamk_f32 v188, v83, 0x3f62ad3f, v190
	v_add_f32_e32 v101, v105, v101
	s_delay_alu instid0(VALU_DEP_4) | instskip(SKIP_1) | instid1(VALU_DEP_4)
	v_dual_add_f32 v105, v147, v111 :: v_dual_add_f32 v60, v61, v60
	v_dual_fmamk_f32 v111, v89, 0xbf3f9e67, v109 :: v_dual_add_f32 v64, v71, v51
	v_dual_add_f32 v187, v188, v187 :: v_dual_fmamk_f32 v188, v85, 0x3df6dbef, v191
	v_dual_sub_f32 v62, v98, v145 :: v_dual_sub_f32 v107, v115, v148
	v_dual_add_f32 v61, v149, v99 :: v_dual_fmac_f32 v172, 0x3eedf032, v88
	s_delay_alu instid0(VALU_DEP_3) | instskip(SKIP_3) | instid1(VALU_DEP_3)
	v_add_f32_e32 v179, v188, v187
	v_dual_fmamk_f32 v187, v87, 0xbf788fa5, v195 :: v_dual_add_f32 v188, v196, v193
	v_mul_f32_e32 v193, 0xbf7e222b, v106
	v_dual_add_f32 v103, v107, v103 :: v_dual_add_f32 v50, v70, v50
	v_add_f32_e32 v106, v187, v179
	v_mul_f32_e32 v179, 0x3f52af12, v123
	v_dual_add_f32 v187, v192, v188 :: v_dual_fmamk_f32 v188, v86, 0xbeedf032, v124
	v_fmamk_f32 v192, v79, 0x3df6dbef, v193
	v_dual_sub_f32 v107, v119, v153 :: v_dual_add_f32 v60, v61, v60
	s_delay_alu instid0(VALU_DEP_3) | instskip(NEXT) | instid1(VALU_DEP_3)
	v_dual_fmamk_f32 v196, v89, 0x3f116cb1, v179 :: v_dual_add_f32 v187, v188, v187
	v_add_f32_e32 v188, v48, v192
	v_dual_fmamk_f32 v192, v80, 0xbf788fa5, v108 :: v_dual_add_f32 v57, v57, v64
	s_delay_alu instid0(VALU_DEP_3) | instskip(SKIP_2) | instid1(VALU_DEP_4)
	v_add_f32_e32 v113, v196, v106
	v_add_f32_e32 v61, v155, v102
	v_dual_add_f32 v101, v105, v101 :: v_dual_add_f32 v56, v56, v50
	v_add_f32_e32 v106, v192, v188
	v_dual_fmamk_f32 v188, v83, 0xbeb58ec6, v197 :: v_dual_add_f32 v115, v152, v116
	v_dual_fmac_f32 v146, 0x3eedf032, v82 :: v_dual_add_f32 v57, v59, v57
	v_fmac_f32_e32 v176, 0xbf6f5d39, v90
	s_delay_alu instid0(VALU_DEP_3) | instskip(SKIP_3) | instid1(VALU_DEP_4)
	v_dual_add_f32 v106, v188, v106 :: v_dual_add_f32 v59, v49, v141
	v_fmac_f32_e32 v186, 0x3e750f2a, v88
	v_add_f32_e32 v50, v61, v60
	v_fma_f32 v60, 0xbf788fa5, v79, -v157
	v_dual_add_f32 v106, v133, v106 :: v_dual_add_f32 v103, v107, v103
	v_add_f32_e32 v56, v58, v56
	v_dual_sub_f32 v107, v122, v161 :: v_dual_fmac_f32 v150, 0xbf29c268, v84
	s_delay_alu instid0(VALU_DEP_3) | instskip(SKIP_2) | instid1(VALU_DEP_3)
	v_dual_add_f32 v110, v110, v106 :: v_dual_add_f32 v101, v115, v101
	v_dual_add_f32 v58, v48, v60 :: v_dual_add_f32 v53, v53, v57
	v_dual_add_f32 v57, v146, v59 :: v_dual_fmac_f32 v112, 0xbf7e222b, v81
	v_add_f32_e32 v105, v111, v110
	v_sub_f32_e32 v110, v95, v132
	v_fma_f32 v59, 0x3f62ad3f, v80, -v160
	v_dual_add_f32 v111, v159, v120 :: v_dual_fmac_f32 v154, 0x3f52af12, v86
	v_dual_add_f32 v52, v52, v56 :: v_dual_add_f32 v95, v107, v103
	s_delay_alu instid0(VALU_DEP_4) | instskip(NEXT) | instid1(VALU_DEP_4)
	v_dual_add_f32 v103, v49, v110 :: v_dual_fmac_f32 v158, 0xbf6f5d39, v88
	v_dual_sub_f32 v107, v94, v136 :: v_dual_add_f32 v56, v59, v58
	v_fma_f32 v60, 0xbf3f9e67, v80, -v189
	v_add_f32_e32 v53, v55, v53
	v_dual_add_f32 v55, v150, v57 :: v_dual_fmac_f32 v194, 0xbe750f2a, v82
	v_fma_f32 v57, 0xbf3f9e67, v83, -v162
	v_dual_add_f32 v91, v107, v103 :: v_dual_fmac_f32 v164, 0xbf29c268, v81
	s_delay_alu instid0(VALU_DEP_4) | instskip(NEXT) | instid1(VALU_DEP_3)
	v_dual_add_f32 v45, v45, v53 :: v_dual_add_f32 v52, v54, v52
	v_dual_add_f32 v53, v154, v55 :: v_dual_add_f32 v54, v57, v56
	v_fma_f32 v55, 0x3f116cb1, v85, -v165
	s_delay_alu instid0(VALU_DEP_4) | instskip(NEXT) | instid1(VALU_DEP_4)
	v_add_f32_e32 v63, v96, v91
	v_add_f32_e32 v44, v44, v52
	s_delay_alu instid0(VALU_DEP_4) | instskip(NEXT) | instid1(VALU_DEP_4)
	v_dual_add_f32 v52, v158, v53 :: v_dual_fmac_f32 v163, 0x3f7e222b, v90
	v_add_f32_e32 v54, v55, v54
	v_fma_f32 v55, 0xbeb58ec6, v87, -v168
	v_add_f32_e32 v56, v49, v164
	v_add_f32_e32 v62, v62, v63
	v_sub_f32_e32 v63, v100, v151
	v_dual_add_f32 v53, v163, v52 :: v_dual_fmac_f32 v124, 0x3eedf032, v86
	v_fma_f32 v52, 0xbf3f9e67, v79, -v171
	v_add_f32_e32 v54, v55, v54
	v_fma_f32 v55, 0x3df6dbef, v89, -v169
	v_add_f32_e32 v56, v167, v56
	v_fma_f32 v58, 0x3df6dbef, v80, -v175
	v_dual_add_f32 v57, v48, v52 :: v_dual_add_f32 v62, v63, v62
	s_delay_alu instid0(VALU_DEP_4) | instskip(NEXT) | instid1(VALU_DEP_4)
	v_add_f32_e32 v52, v55, v54
	v_add_f32_e32 v54, v170, v56
	v_sub_f32_e32 v63, v104, v156
	s_delay_alu instid0(VALU_DEP_4) | instskip(SKIP_1) | instid1(VALU_DEP_4)
	v_dual_add_f32 v55, v58, v57 :: v_dual_fmac_f32 v180, 0x3f52af12, v90
	v_fma_f32 v56, 0x3f116cb1, v83, -v174
	v_add_f32_e32 v54, v166, v54
	v_add_f32_e32 v187, v198, v187
	v_fma_f32 v58, 0x3f62ad3f, v87, -v182
	v_fmac_f32_e32 v181, 0x3f29c268, v82
	v_add_f32_e32 v55, v56, v55
	v_fma_f32 v56, 0xbf788fa5, v85, -v178
	v_add_f32_e32 v54, v172, v54
	v_dual_add_f32 v106, v134, v187 :: v_dual_add_f32 v51, v63, v62
	v_fmac_f32_e32 v184, 0x3eedf032, v84
	s_delay_alu instid0(VALU_DEP_4) | instskip(NEXT) | instid1(VALU_DEP_4)
	v_add_f32_e32 v56, v56, v55
	v_add_f32_e32 v55, v176, v54
	v_fma_f32 v54, 0xbeb58ec6, v79, -v185
	v_fmac_f32_e32 v183, 0xbf7e222b, v86
	v_fmac_f32_e32 v126, 0xbf29c268, v90
	v_add_f32_e32 v56, v58, v56
	v_fma_f32 v58, 0xbeb58ec6, v89, -v173
	v_add_f32_e32 v59, v48, v54
	v_fmac_f32_e32 v121, 0x3f6f5d39, v84
	v_fma_f32 v63, 0xbf3f9e67, v89, -v109
	v_fmac_f32_e32 v125, 0xbf52af12, v88
	v_add_f32_e32 v54, v58, v56
	v_add_f32_e32 v58, v60, v59
	v_fma_f32 v59, 0x3f62ad3f, v83, -v190
	v_and_b32_e32 v60, 0xffff, v77
	v_add_f32_e32 v94, v111, v101
	s_delay_alu instid0(VALU_DEP_3) | instskip(SKIP_1) | instid1(VALU_DEP_4)
	v_add_f32_e32 v58, v59, v58
	v_fma_f32 v59, 0x3df6dbef, v85, -v191
	v_lshlrev_b32_e32 v60, 3, v60
	s_delay_alu instid0(VALU_DEP_2) | instskip(SKIP_1) | instid1(VALU_DEP_1)
	v_add_f32_e32 v58, v59, v58
	v_fma_f32 v59, 0xbf788fa5, v87, -v195
	v_dual_add_f32 v57, v49, v177 :: v_dual_add_f32 v58, v59, v58
	s_delay_alu instid0(VALU_DEP_1) | instskip(SKIP_2) | instid1(VALU_DEP_3)
	v_add_f32_e32 v57, v181, v57
	v_fma_f32 v59, 0x3f116cb1, v89, -v179
	v_add_f32_e32 v49, v49, v112
	v_add_f32_e32 v57, v184, v57
	s_delay_alu instid0(VALU_DEP_1) | instskip(NEXT) | instid1(VALU_DEP_1)
	v_add_f32_e32 v57, v183, v57
	v_add_f32_e32 v56, v186, v57
	v_fma_f32 v57, 0x3df6dbef, v79, -v193
	s_delay_alu instid0(VALU_DEP_1) | instskip(SKIP_1) | instid1(VALU_DEP_1)
	v_add_f32_e32 v48, v48, v57
	v_fma_f32 v57, 0xbf788fa5, v80, -v108
	v_add_f32_e32 v48, v57, v48
	v_fma_f32 v57, 0xbeb58ec6, v83, -v197
	s_delay_alu instid0(VALU_DEP_1) | instskip(SKIP_1) | instid1(VALU_DEP_1)
	v_add_f32_e32 v48, v57, v48
	v_fma_f32 v57, 0x3f62ad3f, v85, -v117
	v_add_f32_e32 v48, v57, v48
	v_fma_f32 v57, 0x3f116cb1, v87, -v118
	s_delay_alu instid0(VALU_DEP_1) | instskip(SKIP_1) | instid1(VALU_DEP_1)
	v_add_f32_e32 v62, v57, v48
	v_dual_add_f32 v48, v59, v58 :: v_dual_add_f32 v49, v194, v49
	v_add_f32_e32 v49, v121, v49
	s_delay_alu instid0(VALU_DEP_1) | instskip(NEXT) | instid1(VALU_DEP_1)
	v_add_f32_e32 v49, v124, v49
	v_add_f32_e32 v61, v125, v49
	v_dual_add_f32 v49, v180, v56 :: v_dual_add_f32 v56, v63, v62
	s_delay_alu instid0(VALU_DEP_2)
	v_add_f32_e32 v57, v126, v61
	ds_store_2addr_b64 v60, v[44:45], v[50:51] offset1:1
	ds_store_2addr_b64 v60, v[94:95], v[105:106] offset0:2 offset1:3
	ds_store_2addr_b64 v60, v[113:114], v[129:130] offset0:4 offset1:5
	;; [unrolled: 1-line block ×5, first 2 shown]
	ds_store_b64 v60, v[73:74] offset:96
.LBB0_17:
	s_or_b32 exec_lo, exec_lo, s0
	s_waitcnt lgkmcnt(0)
	s_barrier
	buffer_gl0_inv
	ds_load_2addr_b64 v[49:52], v75 offset1:169
	v_add_nc_u32_e32 v48, 0x800, v75
	s_waitcnt lgkmcnt(0)
	v_dual_mul_f32 v69, v17, v52 :: v_dual_add_nc_u32 v44, 0x1400, v75
	ds_load_2addr_b64 v[53:56], v48 offset0:82 offset1:251
	ds_load_2addr_b64 v[57:60], v44 offset0:36 offset1:205
	v_add_nc_u32_e32 v44, 0x1e00, v75
	v_mul_f32_e32 v17, v17, v51
	v_add_nc_u32_e32 v65, 0x2800, v75
	v_fmac_f32_e32 v69, v16, v51
	s_delay_alu instid0(VALU_DEP_3)
	v_fma_f32 v16, v16, v52, -v17
	s_waitcnt lgkmcnt(0)
	v_dual_mul_f32 v17, v19, v54 :: v_dual_mul_f32 v70, v5, v60
	v_mul_f32_e32 v19, v19, v53
	ds_load_2addr_b64 v[61:64], v44 offset0:54 offset1:223
	v_mul_f32_e32 v52, v15, v58
	ds_load_b64 v[44:45], v75 offset:13520
	ds_load_2addr_b64 v[65:68], v65 offset0:72 offset1:241
	v_mul_f32_e32 v51, v13, v56
	v_mul_f32_e32 v13, v13, v55
	v_dual_mul_f32 v15, v15, v57 :: v_dual_fmac_f32 v70, v4, v59
	v_dual_fmac_f32 v52, v14, v57 :: v_dual_mul_f32 v5, v5, v59
	s_delay_alu instid0(VALU_DEP_4)
	v_fmac_f32_e32 v51, v12, v55
	v_fmac_f32_e32 v17, v18, v53
	v_fma_f32 v18, v18, v54, -v19
	v_fma_f32 v12, v12, v56, -v13
	;; [unrolled: 1-line block ×3, first 2 shown]
	v_add_f32_e32 v15, v49, v69
	v_add_f32_e32 v19, v50, v16
	v_fma_f32 v4, v4, v60, -v5
	s_waitcnt lgkmcnt(0)
	s_barrier
	buffer_gl0_inv
	v_mul_f32_e32 v14, v7, v62
	s_delay_alu instid0(VALU_DEP_1) | instskip(SKIP_2) | instid1(VALU_DEP_3)
	v_dual_mul_f32 v53, v3, v66 :: v_dual_fmac_f32 v14, v6, v61
	v_mul_f32_e32 v5, v7, v61
	v_add_f32_e32 v7, v15, v17
	v_fmac_f32_e32 v53, v2, v65
	v_add_f32_e32 v15, v19, v18
	v_mul_f32_e32 v19, v1, v64
	v_mul_f32_e32 v1, v1, v63
	v_fma_f32 v5, v6, v62, -v5
	v_add_f32_e32 v6, v7, v51
	v_add_f32_e32 v7, v15, v12
	v_fmac_f32_e32 v19, v0, v63
	v_fma_f32 v15, v0, v64, -v1
	s_delay_alu instid0(VALU_DEP_3) | instskip(SKIP_1) | instid1(VALU_DEP_1)
	v_dual_add_f32 v0, v6, v52 :: v_dual_add_f32 v1, v7, v13
	v_dual_mul_f32 v7, v11, v45 :: v_dual_mul_f32 v6, v9, v68
	v_dual_add_f32 v0, v0, v70 :: v_dual_fmac_f32 v7, v10, v44
	s_delay_alu instid0(VALU_DEP_2) | instskip(NEXT) | instid1(VALU_DEP_2)
	v_dual_mul_f32 v3, v3, v65 :: v_dual_fmac_f32 v6, v8, v67
	v_add_f32_e32 v0, v0, v14
	s_delay_alu instid0(VALU_DEP_2) | instskip(NEXT) | instid1(VALU_DEP_4)
	v_fma_f32 v2, v2, v66, -v3
	v_dual_mul_f32 v3, v11, v44 :: v_dual_sub_f32 v44, v69, v7
	s_delay_alu instid0(VALU_DEP_1) | instskip(NEXT) | instid1(VALU_DEP_1)
	v_fma_f32 v3, v10, v45, -v3
	v_add_f32_e32 v11, v16, v3
	s_delay_alu instid0(VALU_DEP_1) | instskip(NEXT) | instid1(VALU_DEP_1)
	v_dual_mul_f32 v56, 0x3ed4b147, v11 :: v_dual_add_f32 v1, v1, v4
	v_dual_fmamk_f32 v58, v44, 0x3f68dda4, v56 :: v_dual_mul_f32 v9, v9, v67
	s_delay_alu instid0(VALU_DEP_2) | instskip(NEXT) | instid1(VALU_DEP_2)
	v_dual_add_f32 v1, v1, v5 :: v_dual_fmac_f32 v56, 0xbf68dda4, v44
	v_add_f32_e32 v58, v50, v58
	s_delay_alu instid0(VALU_DEP_3) | instskip(SKIP_1) | instid1(VALU_DEP_4)
	v_fma_f32 v8, v8, v68, -v9
	v_sub_f32_e32 v9, v16, v3
	v_dual_add_f32 v1, v1, v15 :: v_dual_add_f32 v56, v50, v56
	s_delay_alu instid0(VALU_DEP_3) | instskip(NEXT) | instid1(VALU_DEP_3)
	v_sub_f32_e32 v67, v18, v8
	v_mul_f32_e32 v57, 0xbf7d64f0, v9
	v_mul_f32_e32 v62, 0xbf4178ce, v9
	v_add_f32_e32 v10, v69, v7
	s_delay_alu instid0(VALU_DEP_1) | instskip(NEXT) | instid1(VALU_DEP_4)
	v_dual_add_f32 v1, v1, v2 :: v_dual_fmamk_f32 v64, v10, 0xbf27a4f4, v62
	v_fmamk_f32 v60, v10, 0xbe11bafb, v57
	v_fma_f32 v62, 0xbf27a4f4, v10, -v62
	s_delay_alu instid0(VALU_DEP_3)
	v_add_f32_e32 v1, v1, v8
	v_fma_f32 v57, 0xbe11bafb, v10, -v57
	v_add_f32_e32 v64, v49, v64
	v_add_f32_e32 v60, v49, v60
	v_mul_f32_e32 v16, 0xbf0a6770, v9
	v_dual_mul_f32 v45, 0x3f575c64, v11 :: v_dual_add_f32 v62, v49, v62
	v_mul_f32_e32 v59, 0xbe11bafb, v11
	s_delay_alu instid0(VALU_DEP_3) | instskip(SKIP_3) | instid1(VALU_DEP_4)
	v_dual_add_f32 v57, v49, v57 :: v_dual_fmamk_f32 v54, v10, 0x3f575c64, v16
	v_dual_add_f32 v8, v18, v8 :: v_dual_mul_f32 v63, 0xbf27a4f4, v11
	v_mul_f32_e32 v11, 0xbf75a155, v11
	v_add_f32_e32 v1, v1, v3
	v_add_f32_e32 v54, v49, v54
	v_dual_add_f32 v0, v0, v19 :: v_dual_mul_f32 v3, 0xbf68dda4, v9
	v_mul_f32_e32 v69, 0xbf75a155, v8
	v_mul_f32_e32 v9, 0xbe903f40, v9
	v_fma_f32 v16, 0x3f575c64, v10, -v16
	s_delay_alu instid0(VALU_DEP_4)
	v_add_f32_e32 v0, v0, v53
	v_fmamk_f32 v61, v44, 0x3f7d64f0, v59
	v_fmamk_f32 v68, v44, 0x3e903f40, v11
	;; [unrolled: 1-line block ×3, first 2 shown]
	v_fma_f32 v9, 0xbf75a155, v10, -v9
	v_add_f32_e32 v0, v0, v6
	v_dual_mul_f32 v18, 0xbf68dda4, v67 :: v_dual_add_f32 v61, v50, v61
	s_delay_alu instid0(VALU_DEP_4) | instskip(NEXT) | instid1(VALU_DEP_3)
	v_dual_add_f32 v66, v49, v66 :: v_dual_fmamk_f32 v55, v10, 0x3ed4b147, v3
	v_add_f32_e32 v0, v0, v7
	v_fmamk_f32 v7, v44, 0x3f0a6770, v45
	v_fmac_f32_e32 v45, 0xbf0a6770, v44
	v_fma_f32 v3, 0x3ed4b147, v10, -v3
	v_dual_add_f32 v10, v17, v6 :: v_dual_fmac_f32 v59, 0xbf7d64f0, v44
	v_fmamk_f32 v65, v44, 0x3f4178ce, v63
	s_delay_alu instid0(VALU_DEP_4) | instskip(NEXT) | instid1(VALU_DEP_4)
	v_add_f32_e32 v45, v50, v45
	v_add_f32_e32 v3, v49, v3
	v_fmac_f32_e32 v63, 0xbf4178ce, v44
	v_dual_fmac_f32 v11, 0xbe903f40, v44 :: v_dual_sub_f32 v6, v17, v6
	v_dual_add_f32 v55, v49, v55 :: v_dual_add_f32 v44, v50, v68
	v_dual_mul_f32 v17, 0x3ed4b147, v8 :: v_dual_fmamk_f32 v68, v10, 0x3ed4b147, v18
	v_dual_add_f32 v7, v50, v7 :: v_dual_add_f32 v16, v49, v16
	v_add_f32_e32 v65, v50, v65
	v_add_f32_e32 v63, v50, v63
	;; [unrolled: 1-line block ×4, first 2 shown]
	v_dual_fmamk_f32 v49, v6, 0x3f68dda4, v17 :: v_dual_add_f32 v54, v68, v54
	v_fma_f32 v18, 0x3ed4b147, v10, -v18
	v_dual_mul_f32 v68, 0xbf27a4f4, v8 :: v_dual_add_f32 v59, v50, v59
	v_mul_f32_e32 v50, 0xbf4178ce, v67
	v_fmac_f32_e32 v17, 0xbf68dda4, v6
	s_delay_alu instid0(VALU_DEP_4) | instskip(SKIP_1) | instid1(VALU_DEP_4)
	v_dual_add_f32 v7, v49, v7 :: v_dual_add_f32 v16, v18, v16
	v_mul_f32_e32 v18, 0x3e903f40, v67
	v_fmamk_f32 v49, v10, 0xbf27a4f4, v50
	s_delay_alu instid0(VALU_DEP_4) | instskip(SKIP_1) | instid1(VALU_DEP_3)
	v_add_f32_e32 v17, v17, v45
	v_fma_f32 v50, 0xbf27a4f4, v10, -v50
	v_add_f32_e32 v45, v49, v55
	v_fmamk_f32 v55, v10, 0xbf75a155, v18
	v_fma_f32 v18, 0xbf75a155, v10, -v18
	v_fmamk_f32 v49, v6, 0x3f4178ce, v68
	s_delay_alu instid0(VALU_DEP_3) | instskip(SKIP_1) | instid1(VALU_DEP_3)
	v_dual_fmac_f32 v68, 0xbf4178ce, v6 :: v_dual_add_f32 v55, v55, v60
	v_mul_f32_e32 v60, 0xbe11bafb, v8
	v_dual_add_f32 v18, v18, v57 :: v_dual_add_f32 v49, v49, v58
	v_mul_f32_e32 v8, 0x3f575c64, v8
	s_delay_alu instid0(VALU_DEP_3) | instskip(NEXT) | instid1(VALU_DEP_1)
	v_fmamk_f32 v57, v6, 0xbf7d64f0, v60
	v_dual_fmac_f32 v60, 0x3f7d64f0, v6 :: v_dual_add_f32 v57, v57, v65
	s_delay_alu instid0(VALU_DEP_1) | instskip(SKIP_3) | instid1(VALU_DEP_1)
	v_add_f32_e32 v60, v60, v63
	v_dual_mul_f32 v58, 0x3f7d64f0, v67 :: v_dual_add_f32 v65, v51, v53
	v_dual_add_f32 v3, v50, v3 :: v_dual_add_f32 v50, v68, v56
	v_fmamk_f32 v56, v6, 0xbe903f40, v69
	v_dual_add_f32 v56, v56, v61 :: v_dual_fmamk_f32 v61, v10, 0xbe11bafb, v58
	v_fma_f32 v58, 0xbe11bafb, v10, -v58
	v_fmac_f32_e32 v69, 0x3e903f40, v6
	s_delay_alu instid0(VALU_DEP_2) | instskip(SKIP_2) | instid1(VALU_DEP_2)
	v_dual_add_f32 v61, v61, v64 :: v_dual_add_f32 v58, v58, v62
	v_dual_mul_f32 v67, 0x3f0a6770, v67 :: v_dual_sub_f32 v62, v12, v2
	v_add_f32_e32 v2, v12, v2
	v_fmamk_f32 v64, v10, 0x3f575c64, v67
	v_fma_f32 v10, 0x3f575c64, v10, -v67
	s_delay_alu instid0(VALU_DEP_2) | instskip(SKIP_3) | instid1(VALU_DEP_4)
	v_dual_add_f32 v63, v64, v66 :: v_dual_fmamk_f32 v64, v6, 0xbf0a6770, v8
	v_mul_f32_e32 v66, 0xbf7d64f0, v62
	v_fmac_f32_e32 v8, 0x3f0a6770, v6
	v_sub_f32_e32 v6, v51, v53
	v_dual_add_f32 v9, v10, v9 :: v_dual_add_f32 v44, v64, v44
	s_delay_alu instid0(VALU_DEP_4) | instskip(NEXT) | instid1(VALU_DEP_4)
	v_dual_fmamk_f32 v12, v65, 0xbe11bafb, v66 :: v_dual_mul_f32 v51, 0xbe11bafb, v2
	v_add_f32_e32 v8, v8, v11
	v_mul_f32_e32 v64, 0x3f575c64, v2
	s_delay_alu instid0(VALU_DEP_3) | instskip(SKIP_2) | instid1(VALU_DEP_3)
	v_dual_add_f32 v10, v12, v54 :: v_dual_fmamk_f32 v11, v6, 0x3f7d64f0, v51
	v_mul_f32_e32 v12, 0x3e903f40, v62
	v_fmac_f32_e32 v51, 0xbf7d64f0, v6
	v_dual_mul_f32 v54, 0xbf75a155, v2 :: v_dual_add_f32 v7, v11, v7
	s_delay_alu instid0(VALU_DEP_3) | instskip(NEXT) | instid1(VALU_DEP_3)
	v_fmamk_f32 v11, v65, 0xbf75a155, v12
	v_add_f32_e32 v17, v51, v17
	s_delay_alu instid0(VALU_DEP_3) | instskip(SKIP_1) | instid1(VALU_DEP_4)
	v_fmamk_f32 v51, v6, 0xbe903f40, v54
	v_fma_f32 v12, 0xbf75a155, v65, -v12
	v_dual_fmac_f32 v54, 0x3e903f40, v6 :: v_dual_add_f32 v11, v11, v45
	s_delay_alu instid0(VALU_DEP_3) | instskip(SKIP_1) | instid1(VALU_DEP_3)
	v_add_f32_e32 v45, v51, v49
	v_mul_f32_e32 v51, 0x3ed4b147, v2
	v_dual_add_f32 v3, v12, v3 :: v_dual_add_f32 v12, v54, v50
	v_mul_f32_e32 v2, 0xbf27a4f4, v2
	v_mul_f32_e32 v50, 0xbf0a6770, v62
	s_delay_alu instid0(VALU_DEP_4) | instskip(NEXT) | instid1(VALU_DEP_1)
	v_fmamk_f32 v54, v6, 0xbf68dda4, v51
	v_dual_fmac_f32 v51, 0x3f68dda4, v6 :: v_dual_add_f32 v54, v54, v56
	v_mul_f32_e32 v56, 0xbf4178ce, v62
	v_fma_f32 v53, 0xbe11bafb, v65, -v66
	v_add_f32_e32 v59, v69, v59
	s_delay_alu instid0(VALU_DEP_2) | instskip(NEXT) | instid1(VALU_DEP_2)
	v_dual_add_f32 v16, v53, v16 :: v_dual_mul_f32 v53, 0x3f68dda4, v62
	v_add_f32_e32 v51, v51, v59
	v_fmamk_f32 v59, v6, 0x3f4178ce, v2
	v_fmac_f32_e32 v2, 0xbf4178ce, v6
	s_delay_alu instid0(VALU_DEP_4) | instskip(SKIP_1) | instid1(VALU_DEP_4)
	v_fmamk_f32 v49, v65, 0x3ed4b147, v53
	v_fma_f32 v53, 0x3ed4b147, v65, -v53
	v_dual_add_f32 v44, v59, v44 :: v_dual_add_f32 v59, v52, v19
	s_delay_alu instid0(VALU_DEP_3) | instskip(SKIP_1) | instid1(VALU_DEP_4)
	v_dual_add_f32 v2, v2, v8 :: v_dual_add_f32 v49, v49, v55
	v_fmamk_f32 v55, v65, 0x3f575c64, v50
	v_add_f32_e32 v18, v53, v18
	v_fma_f32 v50, 0x3f575c64, v65, -v50
	s_delay_alu instid0(VALU_DEP_3) | instskip(SKIP_2) | instid1(VALU_DEP_4)
	v_add_f32_e32 v53, v55, v61
	v_fmamk_f32 v55, v6, 0x3f0a6770, v64
	v_fmac_f32_e32 v64, 0xbf0a6770, v6
	v_add_f32_e32 v50, v50, v58
	v_sub_f32_e32 v6, v52, v19
	s_delay_alu instid0(VALU_DEP_3) | instskip(SKIP_2) | instid1(VALU_DEP_2)
	v_add_f32_e32 v58, v64, v60
	v_sub_f32_e32 v60, v13, v15
	v_add_f32_e32 v13, v13, v15
	v_mul_f32_e32 v15, 0xbf4178ce, v60
	v_mul_f32_e32 v8, 0x3f7d64f0, v60
	s_delay_alu instid0(VALU_DEP_2) | instskip(SKIP_1) | instid1(VALU_DEP_2)
	v_dual_mul_f32 v19, 0xbf27a4f4, v13 :: v_dual_fmamk_f32 v52, v59, 0xbf27a4f4, v15
	v_fma_f32 v15, 0xbf27a4f4, v59, -v15
	v_add_f32_e32 v10, v52, v10
	s_delay_alu instid0(VALU_DEP_4) | instskip(SKIP_1) | instid1(VALU_DEP_4)
	v_fmamk_f32 v52, v59, 0xbe11bafb, v8
	v_fma_f32 v8, 0xbe11bafb, v59, -v8
	v_add_f32_e32 v15, v15, v16
	s_delay_alu instid0(VALU_DEP_3) | instskip(NEXT) | instid1(VALU_DEP_1)
	v_dual_add_f32 v11, v52, v11 :: v_dual_mul_f32 v52, 0x3f575c64, v13
	v_dual_add_f32 v8, v8, v3 :: v_dual_fmamk_f32 v3, v6, 0x3f0a6770, v52
	v_fmac_f32_e32 v52, 0xbf0a6770, v6
	s_delay_alu instid0(VALU_DEP_2) | instskip(SKIP_4) | instid1(VALU_DEP_2)
	v_add_f32_e32 v54, v3, v54
	v_add_f32_e32 v55, v55, v57
	v_fmamk_f32 v57, v65, 0xbf27a4f4, v56
	v_fma_f32 v56, 0xbf27a4f4, v65, -v56
	v_mul_f32_e32 v3, 0xbf75a155, v13
	v_dual_add_f32 v9, v56, v9 :: v_dual_fmamk_f32 v56, v6, 0x3f4178ce, v19
	v_fmac_f32_e32 v19, 0xbf4178ce, v6
	s_delay_alu instid0(VALU_DEP_1) | instskip(SKIP_2) | instid1(VALU_DEP_2)
	v_dual_add_f32 v7, v56, v7 :: v_dual_add_f32 v16, v19, v17
	v_mul_f32_e32 v17, 0xbf0a6770, v60
	v_dual_mul_f32 v56, 0xbe11bafb, v13 :: v_dual_add_f32 v51, v52, v51
	v_fmamk_f32 v61, v59, 0x3f575c64, v17
	v_fma_f32 v17, 0x3f575c64, v59, -v17
	s_delay_alu instid0(VALU_DEP_2) | instskip(NEXT) | instid1(VALU_DEP_4)
	v_add_f32_e32 v49, v61, v49
	v_fmamk_f32 v19, v6, 0xbf7d64f0, v56
	v_fmac_f32_e32 v56, 0x3f7d64f0, v6
	s_delay_alu instid0(VALU_DEP_4) | instskip(SKIP_1) | instid1(VALU_DEP_4)
	v_add_f32_e32 v61, v17, v18
	v_mul_f32_e32 v17, 0x3f68dda4, v60
	v_dual_fmamk_f32 v18, v6, 0x3e903f40, v3 :: v_dual_add_f32 v19, v19, v45
	v_mul_f32_e32 v45, 0xbe903f40, v60
	v_dual_add_f32 v12, v56, v12 :: v_dual_fmac_f32 v3, 0xbe903f40, v6
	s_delay_alu instid0(VALU_DEP_2) | instskip(SKIP_2) | instid1(VALU_DEP_3)
	v_fmamk_f32 v56, v59, 0xbf75a155, v45
	v_mul_f32_e32 v13, 0x3ed4b147, v13
	v_fma_f32 v45, 0xbf75a155, v59, -v45
	v_dual_add_f32 v52, v56, v53 :: v_dual_fmamk_f32 v53, v59, 0x3ed4b147, v17
	v_dual_add_f32 v56, v3, v58 :: v_dual_add_f32 v57, v57, v63
	s_delay_alu instid0(VALU_DEP_4)
	v_fmamk_f32 v3, v6, 0xbf68dda4, v13
	v_fma_f32 v17, 0x3ed4b147, v59, -v17
	v_fmac_f32_e32 v13, 0x3f68dda4, v6
	v_add_f32_e32 v50, v45, v50
	v_add_f32_e32 v53, v53, v57
	v_sub_f32_e32 v57, v4, v5
	v_dual_add_f32 v4, v4, v5 :: v_dual_add_f32 v5, v70, v14
	v_sub_f32_e32 v14, v70, v14
	s_delay_alu instid0(VALU_DEP_3) | instskip(NEXT) | instid1(VALU_DEP_3)
	v_dual_add_f32 v55, v18, v55 :: v_dual_mul_f32 v18, 0xbe903f40, v57
	v_mul_f32_e32 v6, 0xbf75a155, v4
	v_dual_add_f32 v58, v3, v44 :: v_dual_add_f32 v59, v17, v9
	v_add_f32_e32 v60, v13, v2
	s_delay_alu instid0(VALU_DEP_4) | instskip(NEXT) | instid1(VALU_DEP_4)
	v_fmamk_f32 v3, v5, 0xbf75a155, v18
	v_fmamk_f32 v9, v14, 0x3e903f40, v6
	v_fmac_f32_e32 v6, 0xbe903f40, v14
	s_delay_alu instid0(VALU_DEP_3) | instskip(SKIP_1) | instid1(VALU_DEP_3)
	v_dual_mul_f32 v13, 0x3f0a6770, v57 :: v_dual_add_f32 v2, v3, v10
	v_fma_f32 v10, 0xbf75a155, v5, -v18
	v_dual_add_f32 v45, v6, v16 :: v_dual_mul_f32 v6, 0xbf4178ce, v57
	v_add_f32_e32 v3, v9, v7
	s_delay_alu instid0(VALU_DEP_4) | instskip(NEXT) | instid1(VALU_DEP_4)
	v_fmamk_f32 v7, v5, 0x3f575c64, v13
	v_dual_mul_f32 v9, 0x3f575c64, v4 :: v_dual_add_f32 v44, v10, v15
	v_fma_f32 v10, 0x3f575c64, v5, -v13
	s_delay_alu instid0(VALU_DEP_3) | instskip(NEXT) | instid1(VALU_DEP_3)
	v_dual_fmamk_f32 v13, v5, 0xbf27a4f4, v6 :: v_dual_add_f32 v16, v7, v11
	v_fmamk_f32 v7, v14, 0xbf0a6770, v9
	v_fmac_f32_e32 v9, 0x3f0a6770, v14
	s_delay_alu instid0(VALU_DEP_3) | instskip(SKIP_4) | instid1(VALU_DEP_4)
	v_dual_mul_f32 v15, 0xbf27a4f4, v4 :: v_dual_add_f32 v18, v13, v49
	v_fma_f32 v6, 0xbf27a4f4, v5, -v6
	v_mul_f32_e32 v49, 0x3ed4b147, v4
	v_add_f32_e32 v10, v10, v8
	v_dual_add_f32 v11, v9, v12 :: v_dual_mul_f32 v12, 0x3f68dda4, v57
	v_add_f32_e32 v8, v6, v61
	s_delay_alu instid0(VALU_DEP_4) | instskip(SKIP_3) | instid1(VALU_DEP_3)
	v_dual_fmamk_f32 v6, v14, 0xbf68dda4, v49 :: v_dual_add_f32 v17, v7, v19
	v_fmamk_f32 v7, v14, 0x3f4178ce, v15
	v_fmac_f32_e32 v15, 0xbf4178ce, v14
	v_fmac_f32_e32 v49, 0x3f68dda4, v14
	v_add_f32_e32 v19, v7, v54
	v_fmamk_f32 v7, v5, 0x3ed4b147, v12
	s_delay_alu instid0(VALU_DEP_4) | instskip(SKIP_2) | instid1(VALU_DEP_4)
	v_add_f32_e32 v9, v15, v51
	v_fma_f32 v15, 0x3ed4b147, v5, -v12
	v_mul_f32_e32 v51, 0xbe11bafb, v4
	v_dual_add_f32 v12, v7, v52 :: v_dual_mul_f32 v7, 0xbf7d64f0, v57
	s_delay_alu instid0(VALU_DEP_1) | instskip(NEXT) | instid1(VALU_DEP_3)
	v_dual_fmamk_f32 v4, v5, 0xbe11bafb, v7 :: v_dual_add_f32 v13, v6, v55
	v_dual_add_f32 v6, v15, v50 :: v_dual_fmamk_f32 v15, v14, 0x3f7d64f0, v51
	v_fma_f32 v5, 0xbe11bafb, v5, -v7
	v_fmac_f32_e32 v51, 0xbf7d64f0, v14
	s_delay_alu instid0(VALU_DEP_4) | instskip(NEXT) | instid1(VALU_DEP_3)
	v_dual_add_f32 v7, v49, v56 :: v_dual_add_f32 v14, v4, v53
	v_dual_add_f32 v15, v15, v58 :: v_dual_add_f32 v4, v5, v59
	s_delay_alu instid0(VALU_DEP_3)
	v_add_f32_e32 v5, v51, v60
	ds_store_2addr_b64 v78, v[0:1], v[2:3] offset1:13
	ds_store_2addr_b64 v78, v[16:17], v[18:19] offset0:26 offset1:39
	ds_store_2addr_b64 v78, v[12:13], v[14:15] offset0:52 offset1:65
	;; [unrolled: 1-line block ×4, first 2 shown]
	ds_store_b64 v78, v[44:45] offset:1040
	s_waitcnt lgkmcnt(0)
	s_barrier
	buffer_gl0_inv
	s_and_saveexec_b32 s0, vcc_lo
	s_cbranch_execz .LBB0_19
; %bb.18:
	v_add_nc_u32_e32 v4, 0x1000, v75
	v_add_nc_u32_e32 v5, 0x1800, v75
	;; [unrolled: 1-line block ×4, first 2 shown]
	ds_load_2addr_b64 v[0:3], v75 offset1:143
	ds_load_2addr_b64 v[16:19], v48 offset0:30 offset1:173
	ds_load_2addr_b64 v[12:15], v4 offset0:60 offset1:203
	;; [unrolled: 1-line block ×5, first 2 shown]
	ds_load_b64 v[73:74], v75 offset:13728
.LBB0_19:
	s_or_b32 exec_lo, exec_lo, s0
	s_and_saveexec_b32 s0, vcc_lo
	s_cbranch_execz .LBB0_21
; %bb.20:
	s_waitcnt lgkmcnt(0)
	v_dual_mul_f32 v48, v43, v73 :: v_dual_mul_f32 v49, v37, v2
	v_dual_mul_f32 v50, v41, v46 :: v_dual_mul_f32 v51, v39, v16
	;; [unrolled: 1-line block ×3, first 2 shown]
	s_delay_alu instid0(VALU_DEP_3) | instskip(NEXT) | instid1(VALU_DEP_4)
	v_fma_f32 v48, v42, v74, -v48
	v_fma_f32 v49, v36, v3, -v49
	s_delay_alu instid0(VALU_DEP_4) | instskip(SKIP_2) | instid1(VALU_DEP_4)
	v_fma_f32 v43, v40, v47, -v50
	v_fma_f32 v50, v38, v17, -v51
	v_dual_mul_f32 v53, v39, v17 :: v_dual_fmac_f32 v52, v36, v2
	v_add_f32_e32 v51, v48, v49
	v_mul_f32_e32 v54, v23, v9
	s_delay_alu instid0(VALU_DEP_4) | instskip(SKIP_4) | instid1(VALU_DEP_3)
	v_dual_add_f32 v36, v43, v50 :: v_dual_mul_f32 v39, v41, v47
	v_fmac_f32_e32 v37, v42, v73
	v_dual_mul_f32 v41, v35, v44 :: v_dual_mul_f32 v42, v29, v18
	v_mul_f32_e32 v35, v35, v45
	v_dual_fmac_f32 v53, v38, v16 :: v_dual_mul_f32 v38, 0xbf788fa5, v51
	v_fma_f32 v41, v34, v45, -v41
	s_delay_alu instid0(VALU_DEP_4) | instskip(NEXT) | instid1(VALU_DEP_4)
	v_fma_f32 v42, v28, v19, -v42
	v_fmac_f32_e32 v35, v34, v44
	v_mul_f32_e32 v97, 0x3df6dbef, v51
	v_mul_f32_e32 v111, 0xbeb58ec6, v36
	s_delay_alu instid0(VALU_DEP_4) | instskip(SKIP_3) | instid1(VALU_DEP_4)
	v_dual_fmac_f32 v54, v22, v8 :: v_dual_add_f32 v45, v41, v42
	v_dual_fmac_f32 v39, v40, v46 :: v_dual_mul_f32 v40, 0x3f62ad3f, v36
	v_mul_f32_e32 v64, v21, v7
	v_sub_f32_e32 v60, v50, v43
	v_mul_f32_e32 v44, 0xbf3f9e67, v45
	v_sub_f32_e32 v17, v52, v37
	s_delay_alu instid0(VALU_DEP_4) | instskip(NEXT) | instid1(VALU_DEP_4)
	v_dual_mul_f32 v115, 0xbf788fa5, v45 :: v_dual_fmac_f32 v64, v20, v6
	v_mul_f32_e32 v62, 0x3eedf032, v60
	v_mul_f32_e32 v80, 0x3f7e222b, v60
	s_delay_alu instid0(VALU_DEP_4) | instskip(SKIP_3) | instid1(VALU_DEP_4)
	v_fmamk_f32 v2, v17, 0x3e750f2a, v38
	v_sub_f32_e32 v16, v53, v39
	v_mul_f32_e32 v74, 0x3f116cb1, v45
	v_mul_f32_e32 v88, 0x3f62ad3f, v45
	v_dual_mul_f32 v117, 0xbf6f5d39, v60 :: v_dual_add_f32 v2, v1, v2
	s_delay_alu instid0(VALU_DEP_4) | instskip(SKIP_3) | instid1(VALU_DEP_4)
	v_fmamk_f32 v3, v16, 0xbeedf032, v40
	v_mul_f32_e32 v29, v29, v19
	v_dual_mul_f32 v19, v31, v12 :: v_dual_fmamk_f32 v114, v16, 0x3f6f5d39, v111
	v_mul_f32_e32 v70, 0xbf3f9e67, v51
	v_add_f32_e32 v2, v3, v2
	v_mul_f32_e32 v31, v31, v13
	v_dual_fmac_f32 v29, v28, v18 :: v_dual_mul_f32 v104, 0xbe750f2a, v60
	v_mul_f32_e32 v100, 0xbeb58ec6, v45
	v_mul_f32_e32 v45, 0x3df6dbef, v45
	s_delay_alu instid0(VALU_DEP_4)
	v_fmac_f32_e32 v31, v30, v12
	v_mul_f32_e32 v3, v33, v10
	v_mul_f32_e32 v33, v33, v11
	;; [unrolled: 1-line block ×4, first 2 shown]
	v_fma_f32 v34, v30, v13, -v19
	v_fmac_f32_e32 v40, 0x3eedf032, v16
	v_fmac_f32_e32 v38, 0xbe750f2a, v17
	v_fma_f32 v47, v24, v15, -v12
	v_dual_mul_f32 v12, v27, v4 :: v_dual_fmac_f32 v33, v32, v10
	v_mul_f32_e32 v27, v27, v5
	s_delay_alu instid0(VALU_DEP_2)
	v_fma_f32 v58, v26, v5, -v12
	v_dual_add_f32 v12, v39, v53 :: v_dual_fmac_f32 v25, v24, v14
	v_sub_f32_e32 v24, v49, v48
	v_sub_f32_e32 v10, v31, v33
	v_fma_f32 v28, v32, v11, -v3
	v_fmac_f32_e32 v27, v26, v4
	v_dual_mul_f32 v99, 0xbf788fa5, v36 :: v_dual_fmamk_f32 v106, v12, 0xbf788fa5, v104
	v_mul_f32_e32 v78, 0xbf29c268, v24
	s_delay_alu instid0(VALU_DEP_4) | instskip(SKIP_3) | instid1(VALU_DEP_4)
	v_add_f32_e32 v46, v28, v34
	v_sub_f32_e32 v26, v34, v28
	v_dual_mul_f32 v3, v23, v8 :: v_dual_sub_f32 v8, v25, v54
	v_dual_mul_f32 v59, 0xbe750f2a, v24 :: v_dual_add_f32 v18, v54, v25
	v_mul_f32_e32 v30, 0x3f116cb1, v46
	s_delay_alu instid0(VALU_DEP_3) | instskip(SKIP_2) | instid1(VALU_DEP_4)
	v_fma_f32 v32, v22, v9, -v3
	v_dual_mul_f32 v9, v21, v6 :: v_dual_sub_f32 v14, v27, v64
	v_mul_f32_e32 v66, 0x3f52af12, v26
	v_fmamk_f32 v3, v10, 0xbf52af12, v30
	v_sub_f32_e32 v11, v29, v35
	v_add_f32_e32 v55, v32, v47
	v_fma_f32 v57, v20, v7, -v9
	v_add_f32_e32 v9, v37, v52
	v_sub_f32_e32 v68, v47, v32
	v_fmamk_f32 v13, v11, 0x3f29c268, v44
	s_delay_alu instid0(VALU_DEP_4) | instskip(SKIP_2) | instid1(VALU_DEP_4)
	v_dual_mul_f32 v56, 0xbeb58ec6, v55 :: v_dual_add_f32 v61, v57, v58
	v_fmamk_f32 v7, v12, 0x3f62ad3f, v62
	v_add_f32_e32 v15, v33, v31
	v_add_f32_e32 v2, v13, v2
	v_fmamk_f32 v6, v17, 0x3f29c268, v70
	v_mul_f32_e32 v67, 0x3df6dbef, v61
	v_sub_f32_e32 v73, v58, v57
	s_delay_alu instid0(VALU_DEP_4) | instskip(SKIP_4) | instid1(VALU_DEP_4)
	v_dual_mul_f32 v69, 0xbf6f5d39, v68 :: v_dual_add_f32 v2, v3, v2
	v_fmamk_f32 v3, v8, 0x3f6f5d39, v56
	v_fmamk_f32 v13, v9, 0xbf788fa5, v59
	;; [unrolled: 1-line block ×3, first 2 shown]
	v_mul_f32_e32 v86, 0x3eedf032, v68
	v_dual_mul_f32 v77, 0x3f7e222b, v73 :: v_dual_add_f32 v2, v3, v2
	s_delay_alu instid0(VALU_DEP_4)
	v_add_f32_e32 v5, v0, v13
	v_fmamk_f32 v3, v14, 0xbf7e222b, v67
	v_add_f32_e32 v13, v35, v29
	v_mul_f32_e32 v84, 0xbeb58ec6, v61
	v_dual_mul_f32 v89, 0xbf6f5d39, v73 :: v_dual_mul_f32 v90, 0xbf6f5d39, v24
	v_add_f32_e32 v4, v7, v5
	v_sub_f32_e32 v63, v42, v41
	v_add_f32_e32 v3, v3, v2
	v_fmamk_f32 v7, v9, 0xbf3f9e67, v78
	v_dual_mul_f32 v83, 0x3e750f2a, v26 :: v_dual_mul_f32 v98, 0x3e750f2a, v68
	s_delay_alu instid0(VALU_DEP_4) | instskip(SKIP_1) | instid1(VALU_DEP_4)
	v_mul_f32_e32 v65, 0xbf29c268, v63
	v_mul_f32_e32 v79, 0xbf788fa5, v46
	v_add_f32_e32 v7, v0, v7
	v_fmamk_f32 v21, v18, 0x3f62ad3f, v86
	v_mul_f32_e32 v81, 0x3f62ad3f, v55
	v_fmamk_f32 v5, v13, 0xbf3f9e67, v65
	v_mul_f32_e32 v93, 0xbf788fa5, v55
	v_dual_mul_f32 v95, 0xbf7e222b, v26 :: v_dual_mul_f32 v102, 0xbf7e222b, v24
	s_delay_alu instid0(VALU_DEP_3) | instskip(SKIP_1) | instid1(VALU_DEP_4)
	v_dual_mul_f32 v91, 0x3df6dbef, v46 :: v_dual_add_f32 v4, v5, v4
	v_fmamk_f32 v5, v15, 0x3f116cb1, v66
	v_fmamk_f32 v23, v8, 0xbe750f2a, v93
	v_mul_f32_e32 v92, 0x3f29c268, v60
	v_mul_f32_e32 v87, 0xbf3f9e67, v36
	s_delay_alu instid0(VALU_DEP_4) | instskip(SKIP_1) | instid1(VALU_DEP_4)
	v_dual_mul_f32 v103, 0x3f62ad3f, v46 :: v_dual_add_f32 v4, v5, v4
	v_fmamk_f32 v5, v18, 0xbeb58ec6, v69
	v_fmamk_f32 v22, v12, 0xbf3f9e67, v92
	v_mul_f32_e32 v110, 0xbf52af12, v68
	v_mul_f32_e32 v105, 0x3f116cb1, v55
	s_delay_alu instid0(VALU_DEP_4)
	v_dual_mul_f32 v109, 0xbf3f9e67, v61 :: v_dual_add_f32 v2, v5, v4
	v_dual_add_f32 v4, v1, v6 :: v_dual_add_f32 v19, v64, v27
	v_mul_f32_e32 v71, 0x3df6dbef, v36
	v_mul_f32_e32 v85, 0xbeb58ec6, v51
	v_fmamk_f32 v113, v18, 0x3f116cb1, v110
	v_fmamk_f32 v119, v12, 0xbeb58ec6, v117
	v_fmamk_f32 v6, v19, 0x3df6dbef, v77
	v_fmamk_f32 v112, v14, 0x3f29c268, v109
	v_dual_mul_f32 v120, 0xbe750f2a, v63 :: v_dual_add_f32 v49, v49, v1
	v_mul_f32_e32 v36, 0x3f116cb1, v36
	s_delay_alu instid0(VALU_DEP_4)
	v_add_f32_e32 v2, v6, v2
	v_add_f32_e32 v6, v20, v7
	v_fmamk_f32 v20, v17, 0x3f6f5d39, v85
	v_fmamk_f32 v5, v16, 0xbf7e222b, v71
	v_mul_f32_e32 v118, 0x3df6dbef, v55
	v_mul_f32_e32 v124, 0x3eedf032, v73
	v_add_f32_e32 v49, v50, v49
	s_delay_alu instid0(VALU_DEP_4) | instskip(SKIP_4) | instid1(VALU_DEP_4)
	v_dual_fmamk_f32 v125, v16, 0x3f52af12, v36 :: v_dual_add_f32 v4, v5, v4
	v_dual_fmamk_f32 v5, v11, 0x3f52af12, v74 :: v_dual_add_f32 v50, v0, v52
	v_fmac_f32_e32 v44, 0xbf29c268, v11
	v_fmac_f32_e32 v30, 0x3f52af12, v10
	;; [unrolled: 1-line block ×3, first 2 shown]
	v_dual_add_f32 v4, v5, v4 :: v_dual_fmamk_f32 v5, v10, 0xbe750f2a, v79
	v_fmac_f32_e32 v70, 0xbf29c268, v17
	v_fmac_f32_e32 v56, 0xbf6f5d39, v8
	v_fmac_f32_e32 v67, 0x3f7e222b, v14
	v_fmac_f32_e32 v36, 0xbf52af12, v16
	v_dual_add_f32 v4, v5, v4 :: v_dual_fmamk_f32 v5, v8, 0xbeedf032, v81
	s_delay_alu instid0(VALU_DEP_1) | instskip(SKIP_1) | instid1(VALU_DEP_1)
	v_dual_fmamk_f32 v127, v19, 0x3f62ad3f, v124 :: v_dual_add_f32 v4, v5, v4
	v_mul_f32_e32 v82, 0xbf52af12, v63
	v_fmamk_f32 v7, v13, 0x3f116cb1, v82
	s_delay_alu instid0(VALU_DEP_1) | instskip(SKIP_3) | instid1(VALU_DEP_2)
	v_add_f32_e32 v5, v7, v6
	v_fmamk_f32 v6, v15, 0xbf788fa5, v83
	v_fmamk_f32 v7, v14, 0x3f6f5d39, v84
	v_fmac_f32_e32 v84, 0xbf6f5d39, v14
	v_dual_add_f32 v6, v6, v5 :: v_dual_add_f32 v5, v7, v4
	s_delay_alu instid0(VALU_DEP_1) | instskip(SKIP_1) | instid1(VALU_DEP_1)
	v_dual_fmamk_f32 v7, v16, 0xbf29c268, v87 :: v_dual_add_f32 v6, v21, v6
	v_fmamk_f32 v21, v9, 0xbeb58ec6, v90
	v_dual_add_f32 v21, v0, v21 :: v_dual_add_f32 v4, v1, v20
	v_fmamk_f32 v20, v19, 0xbeb58ec6, v89
	s_delay_alu instid0(VALU_DEP_2) | instskip(SKIP_2) | instid1(VALU_DEP_2)
	v_dual_fmac_f32 v85, 0xbf6f5d39, v17 :: v_dual_add_f32 v4, v7, v4
	v_fmamk_f32 v7, v11, 0xbeedf032, v88
	v_fmac_f32_e32 v88, 0x3eedf032, v11
	v_dual_add_f32 v4, v7, v4 :: v_dual_fmamk_f32 v7, v10, 0x3f7e222b, v91
	s_delay_alu instid0(VALU_DEP_1) | instskip(SKIP_2) | instid1(VALU_DEP_3)
	v_dual_mul_f32 v94, 0x3eedf032, v63 :: v_dual_add_f32 v7, v7, v4
	v_add_f32_e32 v4, v20, v6
	v_add_f32_e32 v6, v22, v21
	v_dual_fmamk_f32 v20, v13, 0x3f62ad3f, v94 :: v_dual_add_f32 v7, v23, v7
	v_mul_f32_e32 v96, 0x3f116cb1, v61
	s_delay_alu instid0(VALU_DEP_2) | instskip(SKIP_2) | instid1(VALU_DEP_4)
	v_dual_fmamk_f32 v23, v9, 0x3df6dbef, v102 :: v_dual_add_f32 v6, v20, v6
	v_fmamk_f32 v20, v15, 0x3df6dbef, v95
	v_fmamk_f32 v22, v17, 0x3f7e222b, v97
	;; [unrolled: 1-line block ×3, first 2 shown]
	s_delay_alu instid0(VALU_DEP_4) | instskip(NEXT) | instid1(VALU_DEP_4)
	v_add_f32_e32 v23, v0, v23
	v_add_f32_e32 v6, v20, v6
	s_delay_alu instid0(VALU_DEP_3) | instskip(SKIP_2) | instid1(VALU_DEP_3)
	v_dual_fmamk_f32 v20, v18, 0xbf788fa5, v98 :: v_dual_add_f32 v7, v21, v7
	v_dual_add_f32 v21, v1, v22 :: v_dual_fmamk_f32 v22, v16, 0x3e750f2a, v99
	v_fmac_f32_e32 v96, 0x3f52af12, v14
	v_dual_add_f32 v6, v20, v6 :: v_dual_mul_f32 v101, 0x3f52af12, v73
	s_delay_alu instid0(VALU_DEP_3) | instskip(SKIP_1) | instid1(VALU_DEP_3)
	v_dual_add_f32 v20, v22, v21 :: v_dual_fmamk_f32 v21, v11, 0xbf6f5d39, v100
	v_fmac_f32_e32 v100, 0x3f6f5d39, v11
	v_fmamk_f32 v22, v19, 0x3f116cb1, v101
	s_delay_alu instid0(VALU_DEP_1) | instskip(SKIP_2) | instid1(VALU_DEP_1)
	v_add_f32_e32 v6, v22, v6
	v_add_f32_e32 v22, v106, v23
	v_dual_add_f32 v20, v21, v20 :: v_dual_fmamk_f32 v21, v10, 0xbeedf032, v103
	v_dual_add_f32 v20, v21, v20 :: v_dual_fmamk_f32 v21, v8, 0x3f52af12, v105
	s_delay_alu instid0(VALU_DEP_1) | instskip(NEXT) | instid1(VALU_DEP_1)
	v_dual_mul_f32 v107, 0x3f6f5d39, v63 :: v_dual_add_f32 v20, v21, v20
	v_fmamk_f32 v23, v13, 0xbeb58ec6, v107
	v_mul_f32_e32 v108, 0x3f116cb1, v51
	v_mul_f32_e32 v51, 0x3f62ad3f, v51
	s_delay_alu instid0(VALU_DEP_3) | instskip(NEXT) | instid1(VALU_DEP_3)
	v_add_f32_e32 v21, v23, v22
	v_fmamk_f32 v23, v17, 0x3f52af12, v108
	s_delay_alu instid0(VALU_DEP_3) | instskip(NEXT) | instid1(VALU_DEP_2)
	v_dual_mul_f32 v106, 0x3eedf032, v26 :: v_dual_fmamk_f32 v123, v17, 0x3eedf032, v51
	v_dual_fmac_f32 v108, 0xbf52af12, v17 :: v_dual_add_f32 v23, v1, v23
	s_delay_alu instid0(VALU_DEP_2) | instskip(SKIP_1) | instid1(VALU_DEP_2)
	v_dual_fmamk_f32 v22, v15, 0x3f62ad3f, v106 :: v_dual_add_f32 v123, v1, v123
	v_mul_f32_e32 v122, 0x3f29c268, v26
	v_dual_add_f32 v22, v22, v21 :: v_dual_add_f32 v123, v125, v123
	v_add_f32_e32 v21, v112, v20
	v_fmamk_f32 v125, v11, 0x3f7e222b, v45
	v_mul_f32_e32 v112, 0xbf52af12, v24
	s_delay_alu instid0(VALU_DEP_4) | instskip(SKIP_4) | instid1(VALU_DEP_4)
	v_add_f32_e32 v20, v113, v22
	v_dual_add_f32 v22, v114, v23 :: v_dual_fmamk_f32 v23, v11, 0x3e750f2a, v115
	v_mul_f32_e32 v113, 0xbf3f9e67, v46
	v_mul_f32_e32 v114, 0xbf29c268, v73
	;; [unrolled: 1-line block ×3, first 2 shown]
	v_dual_fmac_f32 v45, 0xbf7e222b, v11 :: v_dual_add_f32 v22, v23, v22
	s_delay_alu instid0(VALU_DEP_4) | instskip(NEXT) | instid1(VALU_DEP_4)
	v_fmamk_f32 v23, v10, 0xbf29c268, v113
	v_fmamk_f32 v121, v19, 0xbf3f9e67, v114
	s_delay_alu instid0(VALU_DEP_2) | instskip(NEXT) | instid1(VALU_DEP_2)
	v_dual_add_f32 v22, v23, v22 :: v_dual_fmamk_f32 v23, v8, 0xbf7e222b, v118
	v_dual_add_f32 v20, v121, v20 :: v_dual_mul_f32 v121, 0x3f62ad3f, v61
	v_fmac_f32_e32 v118, 0x3f7e222b, v8
	s_delay_alu instid0(VALU_DEP_3) | instskip(SKIP_1) | instid1(VALU_DEP_4)
	v_dual_fmac_f32 v111, 0xbf6f5d39, v16 :: v_dual_add_f32 v22, v23, v22
	v_fmac_f32_e32 v115, 0xbe750f2a, v11
	v_fmamk_f32 v126, v14, 0xbeedf032, v121
	v_fmamk_f32 v116, v9, 0x3f116cb1, v112
	v_fmac_f32_e32 v99, 0xbe750f2a, v16
	s_delay_alu instid0(VALU_DEP_2) | instskip(NEXT) | instid1(VALU_DEP_1)
	v_add_f32_e32 v116, v0, v116
	v_dual_add_f32 v116, v119, v116 :: v_dual_fmamk_f32 v119, v13, 0xbf788fa5, v120
	s_delay_alu instid0(VALU_DEP_1) | instskip(SKIP_2) | instid1(VALU_DEP_1)
	v_add_f32_e32 v23, v119, v116
	v_fmamk_f32 v116, v15, 0xbf3f9e67, v122
	v_mul_f32_e32 v119, 0x3f7e222b, v68
	v_dual_add_f32 v23, v116, v23 :: v_dual_fmamk_f32 v116, v18, 0x3df6dbef, v119
	s_delay_alu instid0(VALU_DEP_1) | instskip(NEXT) | instid1(VALU_DEP_1)
	v_dual_add_f32 v116, v116, v23 :: v_dual_add_f32 v23, v126, v22
	v_add_f32_e32 v22, v127, v116
	v_dual_add_f32 v116, v125, v123 :: v_dual_mul_f32 v123, 0xbeedf032, v24
	v_add_f32_e32 v24, v42, v49
	v_add_f32_e32 v42, v53, v50
	s_delay_alu instid0(VALU_DEP_1) | instskip(SKIP_3) | instid1(VALU_DEP_4)
	v_dual_add_f32 v24, v34, v24 :: v_dual_add_f32 v29, v29, v42
	v_fmamk_f32 v52, v10, 0x3f6f5d39, v46
	v_mul_f32_e32 v55, 0xbf3f9e67, v55
	v_fmac_f32_e32 v46, 0xbf6f5d39, v10
	v_add_f32_e32 v24, v47, v24
	v_add_f32_e32 v29, v31, v29
	;; [unrolled: 1-line block ×3, first 2 shown]
	v_fmamk_f32 v50, v8, 0x3f29c268, v55
	v_fmamk_f32 v52, v9, 0x3f62ad3f, v123
	s_delay_alu instid0(VALU_DEP_4) | instskip(NEXT) | instid1(VALU_DEP_3)
	v_dual_add_f32 v24, v58, v24 :: v_dual_add_f32 v25, v25, v29
	v_dual_fmac_f32 v55, 0xbf29c268, v8 :: v_dual_add_f32 v42, v50, v49
	s_delay_alu instid0(VALU_DEP_3) | instskip(SKIP_1) | instid1(VALU_DEP_4)
	v_dual_mul_f32 v50, 0xbf788fa5, v61 :: v_dual_add_f32 v49, v0, v52
	v_mul_f32_e32 v34, 0xbf52af12, v60
	v_dual_add_f32 v24, v57, v24 :: v_dual_mul_f32 v47, 0xbf7e222b, v63
	v_add_f32_e32 v25, v27, v25
	v_mul_f32_e32 v52, 0xbe750f2a, v73
	s_delay_alu instid0(VALU_DEP_4) | instskip(NEXT) | instid1(VALU_DEP_1)
	v_fmamk_f32 v31, v12, 0x3f116cb1, v34
	v_dual_add_f32 v24, v32, v24 :: v_dual_add_f32 v29, v31, v49
	s_delay_alu instid0(VALU_DEP_1) | instskip(SKIP_2) | instid1(VALU_DEP_3)
	v_dual_fmamk_f32 v31, v13, 0x3df6dbef, v47 :: v_dual_add_f32 v24, v28, v24
	v_mul_f32_e32 v49, 0xbf6f5d39, v26
	v_fmamk_f32 v26, v14, 0x3e750f2a, v50
	v_dual_fmac_f32 v50, 0xbe750f2a, v14 :: v_dual_add_f32 v27, v31, v29
	s_delay_alu instid0(VALU_DEP_4) | instskip(NEXT) | instid1(VALU_DEP_3)
	v_dual_add_f32 v31, v64, v25 :: v_dual_add_f32 v24, v41, v24
	v_dual_add_f32 v25, v26, v42 :: v_dual_mul_f32 v42, 0xbf29c268, v68
	v_fma_f32 v41, 0x3f116cb1, v18, -v110
	s_delay_alu instid0(VALU_DEP_2) | instskip(SKIP_1) | instid1(VALU_DEP_1)
	v_fmamk_f32 v28, v18, 0xbf3f9e67, v42
	v_fmamk_f32 v29, v15, 0xbeb58ec6, v49
	v_add_f32_e32 v26, v29, v27
	v_add_f32_e32 v27, v54, v31
	s_delay_alu instid0(VALU_DEP_2) | instskip(NEXT) | instid1(VALU_DEP_2)
	v_dual_add_f32 v31, v43, v24 :: v_dual_add_f32 v26, v28, v26
	v_dual_add_f32 v27, v33, v27 :: v_dual_fmamk_f32 v28, v19, 0xbf788fa5, v52
	v_add_f32_e32 v29, v1, v38
	v_fma_f32 v33, 0x3df6dbef, v12, -v80
	s_delay_alu instid0(VALU_DEP_3) | instskip(NEXT) | instid1(VALU_DEP_4)
	v_add_f32_e32 v32, v35, v27
	v_add_f32_e32 v24, v28, v26
	s_delay_alu instid0(VALU_DEP_4) | instskip(SKIP_1) | instid1(VALU_DEP_4)
	v_add_f32_e32 v29, v40, v29
	v_fma_f32 v26, 0xbf788fa5, v9, -v59
	v_dual_add_f32 v27, v48, v31 :: v_dual_add_f32 v28, v39, v32
	v_fma_f32 v32, 0x3f62ad3f, v12, -v62
	s_delay_alu instid0(VALU_DEP_4) | instskip(NEXT) | instid1(VALU_DEP_4)
	v_add_f32_e32 v29, v44, v29
	v_add_f32_e32 v31, v0, v26
	v_fma_f32 v35, 0x3f116cb1, v13, -v82
	v_add_f32_e32 v26, v37, v28
	v_add_f32_e32 v37, v1, v85
	s_delay_alu instid0(VALU_DEP_4) | instskip(SKIP_3) | instid1(VALU_DEP_4)
	v_dual_add_f32 v28, v30, v29 :: v_dual_add_f32 v29, v32, v31
	v_fma_f32 v30, 0xbf3f9e67, v13, -v65
	v_add_f32_e32 v31, v1, v70
	v_fma_f32 v32, 0x3f116cb1, v15, -v66
	v_add_f32_e32 v28, v56, v28
	v_fmac_f32_e32 v74, 0xbf52af12, v11
	s_delay_alu instid0(VALU_DEP_4) | instskip(SKIP_1) | instid1(VALU_DEP_4)
	v_dual_add_f32 v30, v30, v29 :: v_dual_add_f32 v31, v71, v31
	v_fma_f32 v39, 0xbf788fa5, v12, -v104
	v_add_f32_e32 v29, v67, v28
	v_fma_f32 v28, 0xbf3f9e67, v9, -v78
	s_delay_alu instid0(VALU_DEP_4) | instskip(SKIP_1) | instid1(VALU_DEP_3)
	v_dual_add_f32 v30, v32, v30 :: v_dual_add_f32 v31, v74, v31
	v_fma_f32 v32, 0xbeb58ec6, v18, -v69
	v_dual_fmac_f32 v79, 0x3e750f2a, v10 :: v_dual_add_f32 v28, v0, v28
	v_fma_f32 v40, 0x3f116cb1, v19, -v101
	ds_store_2addr_b64 v75, v[26:27], v[24:25] offset1:143
	v_add_f32_e32 v30, v32, v30
	v_fma_f32 v32, 0x3df6dbef, v19, -v77
	v_add_f32_e32 v33, v33, v28
	v_add_f32_e32 v31, v79, v31
	s_delay_alu instid0(VALU_DEP_3) | instskip(NEXT) | instid1(VALU_DEP_3)
	v_dual_fmac_f32 v81, 0x3eedf032, v8 :: v_dual_add_f32 v28, v32, v30
	v_add_f32_e32 v30, v35, v33
	v_fma_f32 v32, 0xbf788fa5, v15, -v83
	v_fmac_f32_e32 v87, 0x3f29c268, v16
	v_fma_f32 v35, 0xbeb58ec6, v9, -v90
	v_fma_f32 v16, 0xbf788fa5, v13, -v120
	s_delay_alu instid0(VALU_DEP_4) | instskip(SKIP_4) | instid1(VALU_DEP_4)
	v_add_f32_e32 v30, v32, v30
	v_fma_f32 v32, 0x3f62ad3f, v18, -v86
	v_add_f32_e32 v31, v81, v31
	v_add_f32_e32 v33, v87, v37
	v_fma_f32 v37, 0xbeb58ec6, v19, -v89
	v_add_f32_e32 v30, v32, v30
	;; [unrolled: 3-line block ×3, first 2 shown]
	s_delay_alu instid0(VALU_DEP_4) | instskip(NEXT) | instid1(VALU_DEP_3)
	v_dual_add_f32 v31, v84, v31 :: v_dual_add_f32 v30, v37, v30
	v_add_f32_e32 v32, v35, v32
	v_fma_f32 v35, 0x3f62ad3f, v13, -v94
	s_delay_alu instid0(VALU_DEP_1) | instskip(NEXT) | instid1(VALU_DEP_1)
	v_dual_fmac_f32 v97, 0xbf7e222b, v17 :: v_dual_add_f32 v32, v35, v32
	v_dual_fmac_f32 v91, 0xbf7e222b, v10 :: v_dual_add_f32 v38, v1, v97
	v_fma_f32 v35, 0x3df6dbef, v15, -v95
	s_delay_alu instid0(VALU_DEP_2) | instskip(NEXT) | instid1(VALU_DEP_3)
	v_add_f32_e32 v33, v91, v33
	v_add_f32_e32 v37, v99, v38
	s_delay_alu instid0(VALU_DEP_3) | instskip(SKIP_4) | instid1(VALU_DEP_3)
	v_add_f32_e32 v32, v35, v32
	v_fma_f32 v35, 0x3df6dbef, v9, -v102
	v_fma_f32 v38, 0xbf788fa5, v18, -v98
	v_fmac_f32_e32 v103, 0x3eedf032, v10
	v_add_f32_e32 v37, v100, v37
	v_dual_add_f32 v35, v0, v35 :: v_dual_add_f32 v32, v38, v32
	v_add_f32_e32 v38, v1, v108
	v_fmac_f32_e32 v93, 0x3e750f2a, v8
	s_delay_alu instid0(VALU_DEP_4) | instskip(NEXT) | instid1(VALU_DEP_4)
	v_add_f32_e32 v37, v103, v37
	v_dual_add_f32 v35, v39, v35 :: v_dual_add_f32 v32, v40, v32
	s_delay_alu instid0(VALU_DEP_3)
	v_dual_add_f32 v38, v111, v38 :: v_dual_add_f32 v33, v93, v33
	v_fma_f32 v40, 0x3f116cb1, v9, -v112
	v_fma_f32 v9, 0x3f62ad3f, v9, -v123
	v_fmac_f32_e32 v105, 0xbf52af12, v8
	v_fma_f32 v8, 0xbf3f9e67, v18, -v42
	v_fmac_f32_e32 v51, 0xbeedf032, v17
	v_add_f32_e32 v17, v0, v40
	v_add_f32_e32 v0, v0, v9
	v_fma_f32 v9, 0x3f116cb1, v12, -v34
	v_fma_f32 v39, 0xbeb58ec6, v13, -v107
	v_fmac_f32_e32 v113, 0x3f29c268, v10
	v_fma_f32 v40, 0xbeb58ec6, v12, -v117
	v_add_f32_e32 v37, v105, v37
	v_add_f32_e32 v0, v9, v0
	v_fma_f32 v9, 0x3df6dbef, v13, -v47
	v_add_f32_e32 v35, v39, v35
	v_fma_f32 v39, 0x3f62ad3f, v15, -v106
	v_dual_fmac_f32 v109, 0xbf29c268, v14 :: v_dual_add_f32 v12, v40, v17
	s_delay_alu instid0(VALU_DEP_4) | instskip(SKIP_1) | instid1(VALU_DEP_4)
	v_add_f32_e32 v0, v9, v0
	v_fma_f32 v9, 0xbeb58ec6, v15, -v49
	v_add_f32_e32 v39, v39, v35
	s_delay_alu instid0(VALU_DEP_4) | instskip(SKIP_1) | instid1(VALU_DEP_4)
	v_dual_add_f32 v38, v115, v38 :: v_dual_add_f32 v11, v16, v12
	v_fma_f32 v12, 0xbf3f9e67, v15, -v122
	v_add_f32_e32 v0, v9, v0
	v_add_f32_e32 v35, v109, v37
	;; [unrolled: 1-line block ×3, first 2 shown]
	v_fma_f32 v39, 0xbf3f9e67, v19, -v114
	v_add_f32_e32 v10, v12, v11
	v_fma_f32 v11, 0x3df6dbef, v18, -v119
	v_add_f32_e32 v8, v8, v0
	;; [unrolled: 2-line block ×3, first 2 shown]
	v_dual_fmac_f32 v121, 0x3eedf032, v14 :: v_dual_add_f32 v34, v39, v37
	v_add_f32_e32 v9, v11, v10
	v_fma_f32 v10, 0x3f62ad3f, v19, -v124
	v_add_f32_e32 v8, v12, v8
	v_dual_add_f32 v1, v36, v1 :: v_dual_add_nc_u32 v14, 0x2c00, v75
	v_dual_add_f32 v33, v96, v33 :: v_dual_add_f32 v38, v113, v38
	s_delay_alu instid0(VALU_DEP_4) | instskip(NEXT) | instid1(VALU_DEP_3)
	v_add_f32_e32 v0, v10, v9
	v_dual_add_f32 v1, v45, v1 :: v_dual_add_nc_u32 v10, 0x800, v75
	v_add_nc_u32_e32 v12, 0x1800, v75
	s_delay_alu instid0(VALU_DEP_4) | instskip(NEXT) | instid1(VALU_DEP_3)
	v_dual_add_f32 v38, v118, v38 :: v_dual_add_nc_u32 v13, 0x2200, v75
	v_add_f32_e32 v1, v46, v1
	s_delay_alu instid0(VALU_DEP_1) | instskip(NEXT) | instid1(VALU_DEP_3)
	v_add_f32_e32 v11, v55, v1
	v_add_f32_e32 v1, v121, v38
	s_delay_alu instid0(VALU_DEP_2)
	v_add_f32_e32 v9, v50, v11
	v_add_nc_u32_e32 v11, 0x1000, v75
	ds_store_2addr_b64 v10, v[22:23], v[20:21] offset0:30 offset1:173
	ds_store_2addr_b64 v11, v[6:7], v[4:5] offset0:60 offset1:203
	;; [unrolled: 1-line block ×5, first 2 shown]
	ds_store_b64 v75, v[8:9] offset:13728
.LBB0_21:
	s_or_b32 exec_lo, exec_lo, s0
	s_waitcnt lgkmcnt(0)
	s_barrier
	buffer_gl0_inv
	s_and_b32 exec_lo, exec_lo, vcc_lo
	s_cbranch_execz .LBB0_23
; %bb.22:
	s_clause 0x3
	global_load_b64 v[24:25], v75, s[14:15]
	global_load_b64 v[26:27], v75, s[14:15] offset:1144
	global_load_b64 v[28:29], v75, s[14:15] offset:2288
	;; [unrolled: 1-line block ×3, first 2 shown]
	v_add_co_u32 v4, s0, s14, v75
	s_delay_alu instid0(VALU_DEP_1) | instskip(SKIP_1) | instid1(VALU_DEP_3)
	v_add_co_ci_u32_e64 v5, null, s15, 0, s0
	v_mad_u64_u32 v[12:13], null, s6, v72, 0
	v_add_co_u32 v0, vcc_lo, 0x1000, v4
	s_delay_alu instid0(VALU_DEP_3)
	v_add_co_ci_u32_e32 v1, vcc_lo, 0, v5, vcc_lo
	v_add_co_u32 v2, vcc_lo, 0x2000, v4
	v_add_co_ci_u32_e32 v3, vcc_lo, 0, v5, vcc_lo
	v_add_co_u32 v42, vcc_lo, 0x3000, v4
	v_add_co_ci_u32_e32 v43, vcc_lo, 0, v5, vcc_lo
	s_clause 0x7
	global_load_b64 v[32:33], v[0:1], off offset:480
	global_load_b64 v[34:35], v[0:1], off offset:1624
	;; [unrolled: 1-line block ×8, first 2 shown]
	v_dual_mov_b32 v0, v13 :: v_dual_add_nc_u32 v1, 0x400, v75
	ds_load_b64 v[52:53], v75
	v_mad_u64_u32 v[50:51], null, s4, v76, 0
	v_add_nc_u32_e32 v5, 0xc00, v75
	v_mad_u64_u32 v[8:9], null, s7, v72, v[0:1]
	ds_load_2addr_b64 v[0:3], v1 offset0:15 offset1:158
	v_add_nc_u32_e32 v9, 0x1400, v75
	v_add_nc_u32_e32 v16, 0x2800, v75
	v_mov_b32_e32 v4, v51
	s_mul_i32 s0, s5, 0x478
	s_mul_hi_u32 s1, s4, 0x478
	v_mov_b32_e32 v13, v8
	s_add_i32 s3, s1, s0
	v_mad_u64_u32 v[14:15], null, s5, v76, v[4:5]
	ds_load_2addr_b64 v[4:7], v5 offset0:45 offset1:188
	v_add_nc_u32_e32 v15, 0x1c00, v75
	v_add_nc_u32_e32 v20, 0x3000, v75
	v_lshlrev_b64 v[54:55], 3, v[12:13]
	s_mov_b32 s0, 0x2ab08acf
	s_mov_b32 s1, 0x3f41a06e
	v_mov_b32_e32 v51, v14
	s_mul_i32 s2, s4, 0x478
	s_delay_alu instid0(VALU_DEP_2) | instskip(NEXT) | instid1(VALU_DEP_2)
	v_add_co_u32 v54, vcc_lo, s12, v54
	v_lshlrev_b64 v[50:51], 3, v[50:51]
	v_add_co_ci_u32_e32 v55, vcc_lo, s13, v55, vcc_lo
	s_delay_alu instid0(VALU_DEP_2) | instskip(NEXT) | instid1(VALU_DEP_2)
	v_add_co_u32 v50, vcc_lo, v54, v50
	v_add_co_ci_u32_e32 v51, vcc_lo, v55, v51, vcc_lo
	s_delay_alu instid0(VALU_DEP_2) | instskip(NEXT) | instid1(VALU_DEP_2)
	v_add_co_u32 v54, vcc_lo, v50, s2
	v_add_co_ci_u32_e32 v55, vcc_lo, s3, v51, vcc_lo
	s_waitcnt vmcnt(11) lgkmcnt(2)
	v_mul_f32_e32 v56, v53, v25
	ds_load_2addr_b64 v[8:11], v9 offset0:75 offset1:218
	s_waitcnt vmcnt(9) lgkmcnt(2)
	v_mul_f32_e32 v58, v3, v29
	ds_load_2addr_b64 v[12:15], v15 offset0:105 offset1:248
	ds_load_2addr_b64 v[16:19], v16 offset0:7 offset1:150
	;; [unrolled: 1-line block ×3, first 2 shown]
	v_mul_f32_e32 v25, v52, v25
	v_dual_mul_f32 v57, v1, v27 :: v_dual_fmac_f32 v56, v52, v24
	v_mul_f32_e32 v27, v0, v27
	s_waitcnt vmcnt(8) lgkmcnt(4)
	v_dual_mul_f32 v59, v5, v31 :: v_dual_fmac_f32 v58, v2, v28
	v_mul_f32_e32 v31, v4, v31
	v_fma_f32 v24, v24, v53, -v25
	v_fmac_f32_e32 v57, v0, v26
	v_fma_f32 v25, v26, v1, -v27
	v_cvt_f64_f32_e32 v[0:1], v56
	v_mul_f32_e32 v29, v2, v29
	v_cvt_f64_f32_e32 v[26:27], v58
	s_waitcnt vmcnt(7)
	v_mul_f32_e32 v56, v7, v33
	v_mul_f32_e32 v33, v6, v33
	s_waitcnt vmcnt(5) lgkmcnt(3)
	v_mul_f32_e32 v58, v11, v37
	s_waitcnt vmcnt(1) lgkmcnt(1)
	v_dual_mul_f32 v62, v19, v47 :: v_dual_fmac_f32 v59, v4, v30
	v_mul_f32_e32 v60, v15, v41
	v_fma_f32 v52, v30, v5, -v31
	v_fmac_f32_e32 v58, v10, v36
	v_fmac_f32_e32 v56, v6, v32
	v_cvt_f64_f32_e32 v[4:5], v57
	v_dual_mul_f32 v57, v9, v35 :: v_dual_fmac_f32 v60, v14, v40
	v_dual_mul_f32 v35, v8, v35 :: v_dual_fmac_f32 v62, v18, v46
	v_mul_f32_e32 v37, v10, v37
	v_fma_f32 v28, v28, v3, -v29
	v_cvt_f64_f32_e32 v[30:31], v59
	v_mul_f32_e32 v59, v13, v39
	v_mul_f32_e32 v39, v12, v39
	v_mul_f32_e32 v41, v14, v41
	v_mul_f32_e32 v61, v17, v45
	v_mul_f32_e32 v45, v16, v45
	v_fma_f32 v32, v32, v7, -v33
	v_cvt_f64_f32_e32 v[2:3], v24
	v_mul_f32_e32 v47, v18, v47
	v_fmac_f32_e32 v57, v8, v34
	v_fma_f32 v33, v34, v9, -v35
	v_cvt_f64_f32_e32 v[24:25], v25
	s_waitcnt vmcnt(0) lgkmcnt(0)
	v_mul_f32_e32 v63, v21, v49
	v_mul_f32_e32 v49, v20, v49
	v_fma_f32 v34, v36, v11, -v37
	v_cvt_f64_f32_e32 v[28:29], v28
	v_fmac_f32_e32 v59, v12, v38
	v_fma_f32 v35, v38, v13, -v39
	v_cvt_f64_f32_e32 v[52:53], v52
	v_fma_f32 v36, v40, v15, -v41
	v_fmac_f32_e32 v61, v16, v44
	v_fma_f32 v38, v44, v17, -v45
	v_cvt_f64_f32_e32 v[6:7], v56
	v_cvt_f64_f32_e32 v[8:9], v32
	v_fma_f32 v44, v46, v19, -v47
	v_cvt_f64_f32_e32 v[10:11], v57
	v_cvt_f64_f32_e32 v[12:13], v33
	v_fmac_f32_e32 v63, v20, v48
	v_fma_f32 v48, v48, v21, -v49
	v_cvt_f64_f32_e32 v[14:15], v58
	v_cvt_f64_f32_e32 v[16:17], v34
	;; [unrolled: 1-line block ×12, first 2 shown]
	v_mul_f64 v[0:1], v[0:1], s[0:1]
	v_mul_f64 v[4:5], v[4:5], s[0:1]
	v_mul_f64 v[26:27], v[26:27], s[0:1]
	v_mul_f64 v[30:31], v[30:31], s[0:1]
	v_mul_f64 v[2:3], v[2:3], s[0:1]
	v_add_co_u32 v56, vcc_lo, v54, s2
	v_add_co_ci_u32_e32 v57, vcc_lo, s3, v55, vcc_lo
	v_mul_f64 v[24:25], v[24:25], s[0:1]
	s_delay_alu instid0(VALU_DEP_3) | instskip(SKIP_1) | instid1(VALU_DEP_4)
	v_add_co_u32 v58, vcc_lo, v56, s2
	v_mul_f64 v[28:29], v[28:29], s[0:1]
	v_add_co_ci_u32_e32 v59, vcc_lo, s3, v57, vcc_lo
	v_mul_f64 v[52:53], v[52:53], s[0:1]
	s_delay_alu instid0(VALU_DEP_4) | instskip(NEXT) | instid1(VALU_DEP_3)
	v_add_co_u32 v60, vcc_lo, v58, s2
	v_add_co_ci_u32_e32 v61, vcc_lo, s3, v59, vcc_lo
	v_mul_f64 v[6:7], v[6:7], s[0:1]
	v_mul_f64 v[8:9], v[8:9], s[0:1]
	;; [unrolled: 1-line block ×4, first 2 shown]
	v_add_co_u32 v62, vcc_lo, v60, s2
	v_mul_f64 v[14:15], v[14:15], s[0:1]
	v_mul_f64 v[16:17], v[16:17], s[0:1]
	;; [unrolled: 1-line block ×12, first 2 shown]
	v_cvt_f32_f64_e32 v0, v[0:1]
	v_add_co_ci_u32_e32 v63, vcc_lo, s3, v61, vcc_lo
	v_cvt_f32_f64_e32 v1, v[2:3]
	v_cvt_f32_f64_e32 v2, v[4:5]
	;; [unrolled: 1-line block ×3, first 2 shown]
	v_add_co_u32 v26, vcc_lo, v62, s2
	v_cvt_f32_f64_e32 v3, v[24:25]
	v_cvt_f32_f64_e32 v24, v[30:31]
	v_add_co_ci_u32_e32 v27, vcc_lo, s3, v63, vcc_lo
	v_cvt_f32_f64_e32 v5, v[28:29]
	v_add_co_u32 v28, vcc_lo, v26, s2
	v_cvt_f32_f64_e32 v25, v[52:53]
	s_delay_alu instid0(VALU_DEP_4) | instskip(NEXT) | instid1(VALU_DEP_3)
	v_add_co_ci_u32_e32 v29, vcc_lo, s3, v27, vcc_lo
	v_add_co_u32 v30, vcc_lo, v28, s2
	v_cvt_f32_f64_e32 v6, v[6:7]
	v_cvt_f32_f64_e32 v7, v[8:9]
	;; [unrolled: 1-line block ×4, first 2 shown]
	v_add_co_ci_u32_e32 v31, vcc_lo, s3, v29, vcc_lo
	v_cvt_f32_f64_e32 v10, v[14:15]
	v_cvt_f32_f64_e32 v11, v[16:17]
	;; [unrolled: 1-line block ×12, first 2 shown]
	v_add_co_u32 v32, vcc_lo, v30, s2
	v_add_co_ci_u32_e32 v33, vcc_lo, s3, v31, vcc_lo
	s_delay_alu instid0(VALU_DEP_2) | instskip(NEXT) | instid1(VALU_DEP_2)
	v_add_co_u32 v34, vcc_lo, v32, s2
	v_add_co_ci_u32_e32 v35, vcc_lo, s3, v33, vcc_lo
	s_delay_alu instid0(VALU_DEP_2) | instskip(NEXT) | instid1(VALU_DEP_2)
	v_add_co_u32 v36, vcc_lo, v34, s2
	v_add_co_ci_u32_e32 v37, vcc_lo, s3, v35, vcc_lo
	s_clause 0x4
	global_store_b64 v[50:51], v[0:1], off
	global_store_b64 v[54:55], v[2:3], off
	;; [unrolled: 1-line block ×12, first 2 shown]
	global_load_b64 v[0:1], v[42:43], off offset:1440
	s_waitcnt vmcnt(0)
	v_mul_f32_e32 v2, v23, v1
	v_mul_f32_e32 v1, v22, v1
	s_delay_alu instid0(VALU_DEP_2) | instskip(NEXT) | instid1(VALU_DEP_2)
	v_fmac_f32_e32 v2, v22, v0
	v_fma_f32 v3, v0, v23, -v1
	s_delay_alu instid0(VALU_DEP_2) | instskip(NEXT) | instid1(VALU_DEP_2)
	v_cvt_f64_f32_e32 v[0:1], v2
	v_cvt_f64_f32_e32 v[2:3], v3
	s_delay_alu instid0(VALU_DEP_2) | instskip(NEXT) | instid1(VALU_DEP_2)
	v_mul_f64 v[0:1], v[0:1], s[0:1]
	v_mul_f64 v[2:3], v[2:3], s[0:1]
	s_delay_alu instid0(VALU_DEP_2) | instskip(NEXT) | instid1(VALU_DEP_2)
	v_cvt_f32_f64_e32 v0, v[0:1]
	v_cvt_f32_f64_e32 v1, v[2:3]
	v_add_co_u32 v2, vcc_lo, v36, s2
	v_add_co_ci_u32_e32 v3, vcc_lo, s3, v37, vcc_lo
	global_store_b64 v[2:3], v[0:1], off
.LBB0_23:
	s_nop 0
	s_sendmsg sendmsg(MSG_DEALLOC_VGPRS)
	s_endpgm
	.section	.rodata,"a",@progbits
	.p2align	6, 0x0
	.amdhsa_kernel bluestein_single_fwd_len1859_dim1_sp_op_CI_CI
		.amdhsa_group_segment_fixed_size 14872
		.amdhsa_private_segment_fixed_size 0
		.amdhsa_kernarg_size 104
		.amdhsa_user_sgpr_count 15
		.amdhsa_user_sgpr_dispatch_ptr 0
		.amdhsa_user_sgpr_queue_ptr 0
		.amdhsa_user_sgpr_kernarg_segment_ptr 1
		.amdhsa_user_sgpr_dispatch_id 0
		.amdhsa_user_sgpr_private_segment_size 0
		.amdhsa_wavefront_size32 1
		.amdhsa_uses_dynamic_stack 0
		.amdhsa_enable_private_segment 0
		.amdhsa_system_sgpr_workgroup_id_x 1
		.amdhsa_system_sgpr_workgroup_id_y 0
		.amdhsa_system_sgpr_workgroup_id_z 0
		.amdhsa_system_sgpr_workgroup_info 0
		.amdhsa_system_vgpr_workitem_id 0
		.amdhsa_next_free_vgpr 199
		.amdhsa_next_free_sgpr 16
		.amdhsa_reserve_vcc 1
		.amdhsa_float_round_mode_32 0
		.amdhsa_float_round_mode_16_64 0
		.amdhsa_float_denorm_mode_32 3
		.amdhsa_float_denorm_mode_16_64 3
		.amdhsa_dx10_clamp 1
		.amdhsa_ieee_mode 1
		.amdhsa_fp16_overflow 0
		.amdhsa_workgroup_processor_mode 1
		.amdhsa_memory_ordered 1
		.amdhsa_forward_progress 0
		.amdhsa_shared_vgpr_count 0
		.amdhsa_exception_fp_ieee_invalid_op 0
		.amdhsa_exception_fp_denorm_src 0
		.amdhsa_exception_fp_ieee_div_zero 0
		.amdhsa_exception_fp_ieee_overflow 0
		.amdhsa_exception_fp_ieee_underflow 0
		.amdhsa_exception_fp_ieee_inexact 0
		.amdhsa_exception_int_div_zero 0
	.end_amdhsa_kernel
	.text
.Lfunc_end0:
	.size	bluestein_single_fwd_len1859_dim1_sp_op_CI_CI, .Lfunc_end0-bluestein_single_fwd_len1859_dim1_sp_op_CI_CI
                                        ; -- End function
	.section	.AMDGPU.csdata,"",@progbits
; Kernel info:
; codeLenInByte = 21380
; NumSgprs: 18
; NumVgprs: 199
; ScratchSize: 0
; MemoryBound: 0
; FloatMode: 240
; IeeeMode: 1
; LDSByteSize: 14872 bytes/workgroup (compile time only)
; SGPRBlocks: 2
; VGPRBlocks: 24
; NumSGPRsForWavesPerEU: 18
; NumVGPRsForWavesPerEU: 199
; Occupancy: 7
; WaveLimiterHint : 1
; COMPUTE_PGM_RSRC2:SCRATCH_EN: 0
; COMPUTE_PGM_RSRC2:USER_SGPR: 15
; COMPUTE_PGM_RSRC2:TRAP_HANDLER: 0
; COMPUTE_PGM_RSRC2:TGID_X_EN: 1
; COMPUTE_PGM_RSRC2:TGID_Y_EN: 0
; COMPUTE_PGM_RSRC2:TGID_Z_EN: 0
; COMPUTE_PGM_RSRC2:TIDIG_COMP_CNT: 0
	.text
	.p2alignl 7, 3214868480
	.fill 96, 4, 3214868480
	.type	__hip_cuid_eade5b11cc0e81a4,@object ; @__hip_cuid_eade5b11cc0e81a4
	.section	.bss,"aw",@nobits
	.globl	__hip_cuid_eade5b11cc0e81a4
__hip_cuid_eade5b11cc0e81a4:
	.byte	0                               ; 0x0
	.size	__hip_cuid_eade5b11cc0e81a4, 1

	.ident	"AMD clang version 19.0.0git (https://github.com/RadeonOpenCompute/llvm-project roc-6.4.0 25133 c7fe45cf4b819c5991fe208aaa96edf142730f1d)"
	.section	".note.GNU-stack","",@progbits
	.addrsig
	.addrsig_sym __hip_cuid_eade5b11cc0e81a4
	.amdgpu_metadata
---
amdhsa.kernels:
  - .args:
      - .actual_access:  read_only
        .address_space:  global
        .offset:         0
        .size:           8
        .value_kind:     global_buffer
      - .actual_access:  read_only
        .address_space:  global
        .offset:         8
        .size:           8
        .value_kind:     global_buffer
      - .actual_access:  read_only
        .address_space:  global
        .offset:         16
        .size:           8
        .value_kind:     global_buffer
      - .actual_access:  read_only
        .address_space:  global
        .offset:         24
        .size:           8
        .value_kind:     global_buffer
      - .actual_access:  read_only
        .address_space:  global
        .offset:         32
        .size:           8
        .value_kind:     global_buffer
      - .offset:         40
        .size:           8
        .value_kind:     by_value
      - .address_space:  global
        .offset:         48
        .size:           8
        .value_kind:     global_buffer
      - .address_space:  global
        .offset:         56
        .size:           8
        .value_kind:     global_buffer
      - .address_space:  global
        .offset:         64
        .size:           8
        .value_kind:     global_buffer
      - .address_space:  global
        .offset:         72
        .size:           8
        .value_kind:     global_buffer
      - .offset:         80
        .size:           4
        .value_kind:     by_value
      - .address_space:  global
        .offset:         88
        .size:           8
        .value_kind:     global_buffer
      - .address_space:  global
        .offset:         96
        .size:           8
        .value_kind:     global_buffer
    .group_segment_fixed_size: 14872
    .kernarg_segment_align: 8
    .kernarg_segment_size: 104
    .language:       OpenCL C
    .language_version:
      - 2
      - 0
    .max_flat_workgroup_size: 169
    .name:           bluestein_single_fwd_len1859_dim1_sp_op_CI_CI
    .private_segment_fixed_size: 0
    .sgpr_count:     18
    .sgpr_spill_count: 0
    .symbol:         bluestein_single_fwd_len1859_dim1_sp_op_CI_CI.kd
    .uniform_work_group_size: 1
    .uses_dynamic_stack: false
    .vgpr_count:     199
    .vgpr_spill_count: 0
    .wavefront_size: 32
    .workgroup_processor_mode: 1
amdhsa.target:   amdgcn-amd-amdhsa--gfx1100
amdhsa.version:
  - 1
  - 2
...

	.end_amdgpu_metadata
